;; amdgpu-corpus repo=zjin-lcf/HeCBench kind=compiled arch=gfx906 opt=O3
	.amdgcn_target "amdgcn-amd-amdhsa--gfx906"
	.amdhsa_code_object_version 6
	.text
	.protected	_Z9fft1D_512P15HIP_vector_typeIdLj2EE ; -- Begin function _Z9fft1D_512P15HIP_vector_typeIdLj2EE
	.globl	_Z9fft1D_512P15HIP_vector_typeIdLj2EE
	.p2align	8
	.type	_Z9fft1D_512P15HIP_vector_typeIdLj2EE,@function
_Z9fft1D_512P15HIP_vector_typeIdLj2EE:  ; @_Z9fft1D_512P15HIP_vector_typeIdLj2EE
; %bb.0:
	s_load_dwordx2 s[4:5], s[4:5], 0x0
	v_lshl_add_u32 v1, s6, 9, v0
	v_ashrrev_i32_e32 v2, 31, v1
	v_lshlrev_b64 v[1:2], 4, v[1:2]
	s_add_u32 s0, s0, s7
	s_waitcnt lgkmcnt(0)
	v_mov_b32_e32 v3, s5
	v_add_co_u32_e32 v29, vcc, s4, v1
	v_addc_co_u32_e32 v30, vcc, v3, v2, vcc
	global_load_dwordx4 v[9:12], v[29:30], off
	global_load_dwordx4 v[1:4], v[29:30], off offset:1024
	global_load_dwordx4 v[5:8], v[29:30], off offset:2048
	s_movk_i32 s4, 0x1000
	v_add_co_u32_e32 v31, vcc, s4, v29
	v_addc_co_u32_e32 v32, vcc, 0, v30, vcc
	global_load_dwordx4 v[13:16], v[29:30], off offset:3072
	global_load_dwordx4 v[25:28], v[31:32], off offset:1024
	;; [unrolled: 1-line block ×4, first 2 shown]
	s_addc_u32 s1, s1, 0
	global_load_dwordx4 v[31:34], v[31:32], off
	s_mov_b32 s4, 0x667f3bcd
	s_mov_b32 s5, 0x3fe6a09e
	s_movk_i32 s18, 0x50
	s_movk_i32 s20, 0x60
	;; [unrolled: 1-line block ×3, first 2 shown]
	s_mov_b32 s8, 0x54442d18
	s_mov_b32 s10, 0x54442d18
	;; [unrolled: 1-line block ×20, first 2 shown]
	v_mov_b32_e32 v39, 16
	v_mov_b32_e32 v41, 32
	;; [unrolled: 1-line block ×4, first 2 shown]
	s_mov_b32 s9, 0xc01921fb
	s_mov_b32 s11, 0xbff921fb
	;; [unrolled: 1-line block ×4, first 2 shown]
	s_movk_i32 s58, 0xff80
	s_mov_b32 s17, 0x7ff00000
	s_mov_b32 s19, 0x3ff921fb
	;; [unrolled: 1-line block ×7, first 2 shown]
	s_movk_i32 s59, 0x1f8
	s_mov_b32 s31, 0x3e21eeb6
	s_mov_b32 s35, 0xbda907db
	v_mov_b32_e32 v45, s18
	v_mov_b32_e32 v44, s20
	;; [unrolled: 1-line block ×3, first 2 shown]
	s_mov_b32 s37, 0xbe927e4f
	s_mov_b32 s39, 0x3efa01a0
	;; [unrolled: 1-line block ×10, first 2 shown]
	s_getpc_b64 s[6:7]
	s_add_u32 s6, s6, __const._Z9fft1D_512P15HIP_vector_typeIdLj2EE.reversed@rel32@lo+8
	s_addc_u32 s7, s7, __const._Z9fft1D_512P15HIP_vector_typeIdLj2EE.reversed@rel32@hi+16
	s_waitcnt vmcnt(7)
	buffer_store_dword v12, off, s[0:3], 0 offset:12
	buffer_store_dword v11, off, s[0:3], 0 offset:8
	;; [unrolled: 1-line block ×3, first 2 shown]
	buffer_store_dword v9, off, s[0:3], 0
	buffer_load_dword v35, off, s[0:3], 0
	buffer_load_dword v36, off, s[0:3], 0 offset:4
	buffer_load_dword v37, off, s[0:3], 0 offset:8
	buffer_load_dword v38, off, s[0:3], 0 offset:12
	s_waitcnt vmcnt(14)
	buffer_store_dword v4, off, s[0:3], 0 offset:28
	buffer_store_dword v3, off, s[0:3], 0 offset:24
	buffer_store_dword v2, off, s[0:3], 0 offset:20
	buffer_store_dword v1, off, s[0:3], 0 offset:16
	s_waitcnt vmcnt(17)
	buffer_store_dword v8, off, s[0:3], 0 offset:44
	buffer_store_dword v7, off, s[0:3], 0 offset:40
	buffer_store_dword v6, off, s[0:3], 0 offset:36
	buffer_store_dword v5, off, s[0:3], 0 offset:32
	;; [unrolled: 5-line block ×4, first 2 shown]
	v_add_f64 v[46:47], v[1:2], v[25:26]
	v_add_f64 v[48:49], v[3:4], v[27:28]
	v_add_f64 v[1:2], v[1:2], -v[25:26]
	v_add_f64 v[3:4], v[3:4], -v[27:28]
	s_waitcnt vmcnt(26)
	v_add_f64 v[25:26], v[5:6], v[21:22]
	v_add_f64 v[27:28], v[7:8], v[23:24]
	v_add_f64 v[5:6], v[5:6], -v[21:22]
	v_add_f64 v[7:8], v[7:8], -v[23:24]
	buffer_store_dword v24, off, s[0:3], 0 offset:108
	buffer_store_dword v23, off, s[0:3], 0 offset:104
	buffer_store_dword v22, off, s[0:3], 0 offset:100
	s_waitcnt vmcnt(28)
	v_add_f64 v[22:23], v[13:14], -v[17:18]
	v_add_f64 v[50:51], v[15:16], -v[19:20]
	buffer_store_dword v21, off, s[0:3], 0 offset:96
	v_add_f64 v[13:14], v[13:14], v[17:18]
	v_add_f64 v[15:16], v[15:16], v[19:20]
	buffer_store_dword v20, off, s[0:3], 0 offset:124
	buffer_store_dword v19, off, s[0:3], 0 offset:120
	;; [unrolled: 1-line block ×4, first 2 shown]
	s_waitcnt vmcnt(32)
	buffer_store_dword v34, off, s[0:3], 0 offset:76
	buffer_store_dword v33, off, s[0:3], 0 offset:72
	;; [unrolled: 1-line block ×4, first 2 shown]
	v_cvt_f64_u32_e32 v[11:12], v0
	v_add_f64 v[17:18], v[50:51], -v[22:23]
	v_add_f64 v[19:20], -v[50:51], -v[22:23]
	v_add_f64 v[21:22], v[1:2], v[3:4]
	v_add_f64 v[1:2], v[3:4], -v[1:2]
	v_add_f64 v[3:4], v[46:47], -v[13:14]
	v_add_f64 v[23:24], v[48:49], -v[15:16]
	v_fma_f64 v[50:51], v[5:6], 0, v[7:8]
	v_fma_f64 v[5:6], v[7:8], 0, -v[5:6]
	v_mul_f64 v[17:18], v[17:18], s[4:5]
	v_mul_f64 v[19:20], v[19:20], s[4:5]
	v_add_f64 v[7:8], v[46:47], v[13:14]
	v_add_f64 v[13:14], v[48:49], v[15:16]
	v_mov_b32_e32 v9, 0
	v_fma_f64 v[48:49], v[3:4], 0, v[23:24]
	v_fma_f64 v[3:4], v[23:24], 0, -v[3:4]
	v_fma_f64 v[15:16], v[21:22], s[4:5], -v[17:18]
	v_fma_f64 v[17:18], v[21:22], s[4:5], v[17:18]
	v_fma_f64 v[46:47], v[1:2], s[4:5], -v[19:20]
	v_fma_f64 v[19:20], v[1:2], s[4:5], v[19:20]
	s_waitcnt vmcnt(30)
	v_add_f64 v[23:24], v[35:36], v[31:32]
	v_add_f64 v[1:2], v[35:36], -v[31:32]
	s_waitcnt vmcnt(28)
	v_add_f64 v[21:22], v[37:38], v[33:34]
	v_add_f64 v[33:34], v[37:38], -v[33:34]
	v_fma_f64 v[31:32], v[15:16], 0, v[46:47]
	v_fma_f64 v[15:16], v[46:47], 0, -v[15:16]
	v_add_f64 v[35:36], v[23:24], v[25:26]
	v_add_f64 v[23:24], v[23:24], -v[25:26]
	v_add_f64 v[25:26], v[21:22], v[27:28]
	v_add_f64 v[21:22], v[21:22], -v[27:28]
	;; [unrolled: 2-line block ×6, first 2 shown]
	v_add_f64 v[25:26], v[23:24], v[48:49]
	v_add_f64 v[35:36], v[21:22], v[3:4]
	v_add_f64 v[3:4], v[21:22], -v[3:4]
	v_add_f64 v[21:22], v[27:28], v[17:18]
	v_add_f64 v[17:18], v[27:28], -v[17:18]
	;; [unrolled: 2-line block ×4, first 2 shown]
	v_add_f64 v[23:24], v[23:24], -v[48:49]
	v_add_f64 v[37:38], v[5:6], v[15:16]
	v_add_f64 v[5:6], v[5:6], -v[15:16]
	buffer_store_dword v34, off, s[0:3], 0 offset:12
	buffer_store_dword v33, off, s[0:3], 0 offset:8
	;; [unrolled: 1-line block ×19, first 2 shown]
	buffer_store_dword v1, off, s[0:3], 0
	buffer_store_dword v18, off, s[0:3], 0 offset:84
	buffer_store_dword v17, off, s[0:3], 0 offset:80
	;; [unrolled: 1-line block ×12, first 2 shown]
	v_mov_b32_e32 v31, 0x40100000
	v_mov_b32_e32 v32, 0x3ff00000
	;; [unrolled: 1-line block ×3, first 2 shown]
	s_branch .LBB0_2
.LBB0_1:                                ;   in Loop: Header=BB0_2 Depth=1
	s_or_b64 exec, exec, s[4:5]
	v_mul_f64 v[13:14], v[19:20], v[19:20]
	v_mov_b32_e32 v25, s30
	v_mov_b32_e32 v26, s31
	s_mov_b32 s54, s42
	v_cmp_class_f64_e64 vcc, v[7:8], s59
	v_and_b32_e32 v7, 1, v35
	v_cmp_eq_u32_e64 s[4:5], 0, v7
	s_add_i32 s33, s33, 16
	v_mul_f64 v[23:24], v[13:14], 0.5
	v_fma_f64 v[46:47], v[13:14], s[34:35], v[25:26]
	v_mul_f64 v[36:37], v[13:14], v[13:14]
	s_add_u32 s6, s6, 4
	s_addc_u32 s7, s7, 0
	s_cmpk_eq_i32 s33, 0x80
	v_add_f64 v[27:28], -v[23:24], 1.0
	v_fma_f64 v[46:47], v[13:14], v[46:47], s[36:37]
	v_add_f64 v[48:49], -v[27:28], 1.0
	v_fma_f64 v[46:47], v[13:14], v[46:47], s[38:39]
	v_add_f64 v[23:24], v[48:49], -v[23:24]
	v_fma_f64 v[46:47], v[13:14], v[46:47], s[40:41]
	v_mul_f64 v[48:49], v[21:22], 0.5
	v_fma_f64 v[23:24], v[19:20], -v[21:22], v[23:24]
	v_fma_f64 v[46:47], v[13:14], v[46:47], s[42:43]
	v_fma_f64 v[23:24], v[36:37], v[46:47], v[23:24]
	v_mul_f64 v[36:37], v[19:20], -v[13:14]
	v_add_f64 v[27:28], v[27:28], v[23:24]
	v_mov_b32_e32 v23, s44
	v_mov_b32_e32 v24, s45
	v_fma_f64 v[46:47], v[13:14], s[46:47], v[23:24]
	v_fma_f64 v[46:47], v[13:14], v[46:47], s[48:49]
	;; [unrolled: 1-line block ×5, first 2 shown]
	v_fma_f64 v[13:14], v[13:14], v[46:47], -v[21:22]
	v_mul_f64 v[21:22], v[15:16], v[15:16]
	v_fma_f64 v[13:14], v[36:37], s[54:55], v[13:14]
	v_fma_f64 v[25:26], v[21:22], s[34:35], v[25:26]
	;; [unrolled: 1-line block ×3, first 2 shown]
	v_add_f64 v[13:14], v[19:20], -v[13:14]
	v_mul_f64 v[19:20], v[21:22], 0.5
	v_fma_f64 v[25:26], v[21:22], v[25:26], s[36:37]
	v_fma_f64 v[23:24], v[21:22], v[23:24], s[48:49]
	v_xor_b32_e32 v7, 0x80000000, v14
	v_cndmask_b32_e64 v10, v13, v27, s[4:5]
	v_cndmask_b32_e64 v7, v7, v28, s[4:5]
	v_add_f64 v[27:28], -v[19:20], 1.0
	v_lshlrev_b32_e32 v13, 30, v35
	v_fma_f64 v[25:26], v[21:22], v[25:26], s[38:39]
	v_fma_f64 v[23:24], v[21:22], v[23:24], s[50:51]
	v_and_b32_e32 v13, 0x80000000, v13
	v_xor_b32_e32 v7, v7, v13
	v_cndmask_b32_e32 v14, v33, v7, vcc
	v_and_b32_e32 v7, 1, v34
	v_add_f64 v[35:36], -v[27:28], 1.0
	v_cmp_eq_u32_e64 s[4:5], 0, v7
	v_fma_f64 v[25:26], v[21:22], v[25:26], s[40:41]
	v_fma_f64 v[23:24], v[21:22], v[23:24], s[52:53]
	v_cndmask_b32_e32 v13, 0, v10, vcc
	v_add_f64 v[19:20], v[35:36], -v[19:20]
	v_mul_f64 v[35:36], v[21:22], v[21:22]
	v_fma_f64 v[25:26], v[21:22], v[25:26], s[42:43]
	v_fma_f64 v[19:20], v[15:16], -v[17:18], v[19:20]
	v_fma_f64 v[19:20], v[35:36], v[25:26], v[19:20]
	v_mul_f64 v[25:26], v[15:16], -v[21:22]
	v_add_f64 v[19:20], v[27:28], v[19:20]
	v_mul_f64 v[27:28], v[17:18], 0.5
	v_fma_f64 v[23:24], v[25:26], v[23:24], v[27:28]
	v_fma_f64 v[17:18], v[21:22], v[23:24], -v[17:18]
	v_fma_f64 v[17:18], v[25:26], s[54:55], v[17:18]
	v_add_f64 v[15:16], v[15:16], -v[17:18]
	v_cndmask_b32_e64 v7, v19, v15, s[4:5]
	v_lshlrev_b32_e32 v15, 30, v34
	v_xor_b32_e32 v8, v15, v8
	v_cndmask_b32_e64 v10, v20, v16, s[4:5]
	v_and_b32_e32 v8, 0x80000000, v8
	v_xor_b32_e32 v8, v10, v8
	v_cndmask_b32_e32 v7, 0, v7, vcc
	v_cndmask_b32_e32 v8, v33, v8, vcc
	s_waitcnt vmcnt(0)
	v_mul_f64 v[15:16], v[3:4], v[7:8]
	v_fma_f64 v[15:16], v[5:6], v[13:14], -v[15:16]
	v_mul_f64 v[5:6], v[5:6], v[7:8]
	v_fma_f64 v[3:4], v[3:4], v[13:14], v[5:6]
	v_mov_b32_e32 v5, s60
	buffer_store_dword v16, v5, s[0:3], 0 offen offset:4
	buffer_store_dword v15, v5, s[0:3], 0 offen
	buffer_store_dword v4, v5, s[0:3], 0 offen offset:12
	buffer_store_dword v3, v5, s[0:3], 0 offen offset:8
	s_cbranch_scc1 .LBB0_10
.LBB0_2:                                ; =>This Inner Loop Header: Depth=1
	v_mov_b32_e32 v4, s33
	buffer_load_dword v5, v4, s[0:3], 0 offen
	buffer_load_dword v6, v4, s[0:3], 0 offen offset:4
	buffer_load_dword v3, v4, s[0:3], 0 offen offset:8
	s_nop 0
	buffer_load_dword v4, v4, s[0:3], 0 offen offset:12
	s_load_dword s4, s[6:7], 0x0
	s_mov_b32 s60, s33
                                        ; implicit-def: $vgpr35
                                        ; implicit-def: $vgpr19_vgpr20
                                        ; implicit-def: $vgpr21_vgpr22
	s_waitcnt lgkmcnt(0)
	v_cvt_f64_i32_e32 v[7:8], s4
	v_mul_f64 v[7:8], v[7:8], s[8:9]
	v_ldexp_f64 v[7:8], v[7:8], -9
	v_mul_f64 v[7:8], v[7:8], v[11:12]
	v_trig_preop_f64 v[25:26], |v[7:8]|, 0
	v_trig_preop_f64 v[23:24], |v[7:8]|, 1
	v_trig_preop_f64 v[13:14], |v[7:8]|, 2
	v_cmp_nlt_f64_e64 s[4:5], |v[7:8]|, s[12:13]
	v_ldexp_f64 v[27:28], |v[7:8]|, s58
	v_and_b32_e32 v36, 0x7fffffff, v8
	s_and_saveexec_b64 s[56:57], s[4:5]
	s_xor_b64 s[56:57], exec, s[56:57]
	s_cbranch_execz .LBB0_4
; %bb.3:                                ;   in Loop: Header=BB0_2 Depth=1
	v_cmp_ge_f64_e64 vcc, |v[7:8]|, s[14:15]
	s_mov_b32 s18, s10
	s_mov_b32 s23, s21
	v_cndmask_b32_e32 v16, v36, v28, vcc
	v_cndmask_b32_e32 v15, v7, v27, vcc
	v_mul_f64 v[17:18], v[25:26], v[15:16]
	v_mul_f64 v[19:20], v[23:24], v[15:16]
	;; [unrolled: 1-line block ×3, first 2 shown]
	v_fma_f64 v[21:22], v[25:26], v[15:16], -v[17:18]
	v_fma_f64 v[50:51], v[23:24], v[15:16], -v[19:20]
	;; [unrolled: 1-line block ×3, first 2 shown]
	v_add_f64 v[34:35], v[19:20], v[21:22]
	v_add_f64 v[37:38], v[34:35], -v[19:20]
	v_add_f64 v[52:53], v[17:18], v[34:35]
	v_add_f64 v[46:47], v[34:35], -v[37:38]
	v_add_f64 v[21:22], v[21:22], -v[37:38]
	v_add_f64 v[37:38], v[48:49], v[50:51]
	v_add_f64 v[17:18], v[52:53], -v[17:18]
	v_add_f64 v[19:20], v[19:20], -v[46:47]
	v_ldexp_f64 v[46:47], v[52:53], -2
	v_add_f64 v[54:55], v[37:38], -v[48:49]
	v_add_f64 v[17:18], v[34:35], -v[17:18]
	v_add_f64 v[19:20], v[21:22], v[19:20]
	v_fract_f64_e32 v[21:22], v[46:47]
	v_cmp_neq_f64_e64 vcc, |v[46:47]|, s[16:17]
	v_add_f64 v[50:51], v[50:51], -v[54:55]
	v_add_f64 v[34:35], v[37:38], v[19:20]
	v_ldexp_f64 v[21:22], v[21:22], 2
	v_add_f64 v[46:47], v[17:18], v[34:35]
	v_cndmask_b32_e32 v22, 0, v22, vcc
	v_cndmask_b32_e32 v21, 0, v21, vcc
	v_add_f64 v[56:57], v[34:35], -v[37:38]
	v_add_f64 v[52:53], v[46:47], v[21:22]
	v_add_f64 v[17:18], v[46:47], -v[17:18]
	v_add_f64 v[58:59], v[34:35], -v[56:57]
	;; [unrolled: 1-line block ×3, first 2 shown]
	v_cmp_gt_f64_e32 vcc, 0, v[52:53]
	v_add_f64 v[52:53], v[37:38], -v[54:55]
	v_add_f64 v[17:18], v[34:35], -v[17:18]
	;; [unrolled: 1-line block ×3, first 2 shown]
	v_cndmask_b32_e32 v10, 0, v31, vcc
	v_add_f64 v[21:22], v[21:22], v[9:10]
	v_add_f64 v[52:53], v[48:49], -v[52:53]
	v_add_f64 v[19:20], v[19:20], v[37:38]
	v_add_f64 v[60:61], v[46:47], v[21:22]
	;; [unrolled: 1-line block ×3, first 2 shown]
	v_cvt_i32_f64_e32 v56, v[60:61]
	v_add_f64 v[19:20], v[50:51], v[19:20]
	v_cvt_f64_i32_e32 v[54:55], v56
	v_add_f64 v[21:22], v[21:22], -v[54:55]
	v_add_f64 v[15:16], v[15:16], v[19:20]
	v_add_f64 v[37:38], v[46:47], v[21:22]
	;; [unrolled: 1-line block ×3, first 2 shown]
	v_add_f64 v[19:20], v[37:38], -v[21:22]
	v_cmp_le_f64_e32 vcc, 0.5, v[37:38]
	v_add_f64 v[17:18], v[46:47], -v[19:20]
	v_cndmask_b32_e32 v10, 0, v32, vcc
	v_add_f64 v[15:16], v[15:16], v[17:18]
	v_add_f64 v[17:18], v[37:38], -v[9:10]
	v_add_f64 v[19:20], v[17:18], v[15:16]
	v_mul_f64 v[21:22], v[19:20], s[18:19]
	v_add_f64 v[17:18], v[19:20], -v[17:18]
	v_fma_f64 v[34:35], v[19:20], s[18:19], -v[21:22]
	v_add_f64 v[15:16], v[15:16], -v[17:18]
	v_fma_f64 v[17:18], v[19:20], s[22:23], v[34:35]
	v_addc_co_u32_e32 v35, vcc, 0, v56, vcc
	v_fma_f64 v[15:16], v[15:16], s[18:19], v[17:18]
	v_add_f64 v[19:20], v[21:22], v[15:16]
	v_add_f64 v[17:18], v[19:20], -v[21:22]
	v_add_f64 v[21:22], v[15:16], -v[17:18]
	s_andn2_saveexec_b64 s[56:57], s[56:57]
	s_cbranch_execz .LBB0_6
	s_branch .LBB0_5
.LBB0_4:                                ;   in Loop: Header=BB0_2 Depth=1
	s_andn2_saveexec_b64 s[56:57], s[56:57]
	s_cbranch_execz .LBB0_6
.LBB0_5:                                ;   in Loop: Header=BB0_2 Depth=1
	v_mul_f64 v[15:16], |v[7:8]|, s[24:25]
	s_mov_b32 s20, s26
	v_rndne_f64_e32 v[15:16], v[15:16]
	v_fma_f64 v[17:18], v[15:16], s[10:11], |v[7:8]|
	v_mul_f64 v[19:20], v[15:16], s[26:27]
	v_add_f64 v[21:22], v[17:18], v[19:20]
	v_add_f64 v[34:35], v[17:18], -v[21:22]
	v_fma_f64 v[17:18], v[15:16], s[26:27], v[17:18]
	v_add_f64 v[34:35], v[34:35], v[19:20]
	v_add_f64 v[21:22], v[21:22], -v[17:18]
	v_fma_f64 v[19:20], v[15:16], s[20:21], v[19:20]
	v_add_f64 v[21:22], v[21:22], v[34:35]
	v_cvt_i32_f64_e32 v35, v[15:16]
	v_add_f64 v[19:20], v[21:22], -v[19:20]
	v_fma_f64 v[21:22], v[15:16], s[28:29], v[19:20]
	v_add_f64 v[19:20], v[17:18], v[21:22]
	v_add_f64 v[17:18], v[19:20], -v[17:18]
	v_add_f64 v[21:22], v[21:22], -v[17:18]
.LBB0_6:                                ;   in Loop: Header=BB0_2 Depth=1
	s_or_b64 exec, exec, s[56:57]
                                        ; implicit-def: $vgpr34
                                        ; implicit-def: $vgpr15_vgpr16
                                        ; implicit-def: $vgpr17_vgpr18
	s_and_saveexec_b64 s[56:57], s[4:5]
	s_xor_b64 s[56:57], exec, s[56:57]
	s_cbranch_execz .LBB0_8
; %bb.7:                                ;   in Loop: Header=BB0_2 Depth=1
	v_cmp_ge_f64_e64 vcc, |v[7:8]|, s[14:15]
	s_mov_b32 s18, s10
	s_mov_b32 s23, s21
	v_cndmask_b32_e32 v16, v36, v28, vcc
	v_cndmask_b32_e32 v15, v7, v27, vcc
	v_mul_f64 v[17:18], v[25:26], v[15:16]
	v_mul_f64 v[27:28], v[23:24], v[15:16]
	;; [unrolled: 1-line block ×3, first 2 shown]
	v_fma_f64 v[25:26], v[25:26], v[15:16], -v[17:18]
	v_fma_f64 v[23:24], v[23:24], v[15:16], -v[27:28]
	;; [unrolled: 1-line block ×3, first 2 shown]
	v_add_f64 v[36:37], v[27:28], v[25:26]
	v_add_f64 v[46:47], v[36:37], -v[27:28]
	v_add_f64 v[52:53], v[17:18], v[36:37]
	v_add_f64 v[48:49], v[36:37], -v[46:47]
	v_add_f64 v[25:26], v[25:26], -v[46:47]
	v_add_f64 v[46:47], v[50:51], v[23:24]
	v_add_f64 v[17:18], v[52:53], -v[17:18]
	v_add_f64 v[27:28], v[27:28], -v[48:49]
	v_ldexp_f64 v[48:49], v[52:53], -2
	v_add_f64 v[54:55], v[46:47], -v[50:51]
	v_add_f64 v[17:18], v[36:37], -v[17:18]
	v_add_f64 v[25:26], v[25:26], v[27:28]
	v_fract_f64_e32 v[27:28], v[48:49]
	v_cmp_neq_f64_e64 vcc, |v[48:49]|, s[16:17]
	v_add_f64 v[23:24], v[23:24], -v[54:55]
	v_add_f64 v[36:37], v[46:47], v[25:26]
	v_ldexp_f64 v[27:28], v[27:28], 2
	v_add_f64 v[48:49], v[17:18], v[36:37]
	v_cndmask_b32_e32 v28, 0, v28, vcc
	v_cndmask_b32_e32 v27, 0, v27, vcc
	v_add_f64 v[56:57], v[36:37], -v[46:47]
	v_add_f64 v[52:53], v[48:49], v[27:28]
	v_add_f64 v[15:16], v[48:49], -v[17:18]
	v_add_f64 v[58:59], v[36:37], -v[56:57]
	;; [unrolled: 1-line block ×3, first 2 shown]
	v_cmp_gt_f64_e32 vcc, 0, v[52:53]
	v_add_f64 v[52:53], v[46:47], -v[54:55]
	v_add_f64 v[15:16], v[36:37], -v[15:16]
	;; [unrolled: 1-line block ×3, first 2 shown]
	v_cndmask_b32_e32 v10, 0, v31, vcc
	v_add_f64 v[27:28], v[27:28], v[9:10]
	v_add_f64 v[52:53], v[50:51], -v[52:53]
	v_add_f64 v[25:26], v[25:26], v[46:47]
	v_add_f64 v[60:61], v[48:49], v[27:28]
	;; [unrolled: 1-line block ×3, first 2 shown]
	v_cvt_i32_f64_e32 v10, v[60:61]
	v_add_f64 v[17:18], v[23:24], v[25:26]
	v_cvt_f64_i32_e32 v[54:55], v10
	v_add_f64 v[27:28], v[27:28], -v[54:55]
	v_add_f64 v[13:14], v[13:14], v[17:18]
	v_add_f64 v[23:24], v[48:49], v[27:28]
	;; [unrolled: 1-line block ×3, first 2 shown]
	v_add_f64 v[17:18], v[23:24], -v[27:28]
	v_cmp_le_f64_e32 vcc, 0.5, v[23:24]
	v_add_f64 v[15:16], v[48:49], -v[17:18]
	v_addc_co_u32_e64 v34, s[4:5], 0, v10, vcc
	v_cndmask_b32_e32 v10, 0, v32, vcc
	v_add_f64 v[13:14], v[13:14], v[15:16]
	v_add_f64 v[15:16], v[23:24], -v[9:10]
	v_add_f64 v[17:18], v[15:16], v[13:14]
	v_mul_f64 v[23:24], v[17:18], s[18:19]
	v_add_f64 v[15:16], v[17:18], -v[15:16]
	v_fma_f64 v[25:26], v[17:18], s[18:19], -v[23:24]
	v_add_f64 v[13:14], v[13:14], -v[15:16]
	v_fma_f64 v[15:16], v[17:18], s[22:23], v[25:26]
	v_fma_f64 v[13:14], v[13:14], s[18:19], v[15:16]
	v_add_f64 v[15:16], v[23:24], v[13:14]
	v_add_f64 v[17:18], v[15:16], -v[23:24]
	v_add_f64 v[17:18], v[13:14], -v[17:18]
	s_andn2_saveexec_b64 s[4:5], s[56:57]
	s_cbranch_execz .LBB0_1
	s_branch .LBB0_9
.LBB0_8:                                ;   in Loop: Header=BB0_2 Depth=1
	s_andn2_saveexec_b64 s[4:5], s[56:57]
	s_cbranch_execz .LBB0_1
.LBB0_9:                                ;   in Loop: Header=BB0_2 Depth=1
	v_mul_f64 v[13:14], |v[7:8]|, s[24:25]
	s_mov_b32 s20, s26
	v_rndne_f64_e32 v[13:14], v[13:14]
	v_fma_f64 v[15:16], v[13:14], s[10:11], |v[7:8]|
	v_mul_f64 v[17:18], v[13:14], s[26:27]
	v_cvt_i32_f64_e32 v34, v[13:14]
	v_fma_f64 v[27:28], v[13:14], s[26:27], v[15:16]
	v_add_f64 v[23:24], v[15:16], v[17:18]
	v_add_f64 v[25:26], v[15:16], -v[23:24]
	v_add_f64 v[23:24], v[23:24], -v[27:28]
	v_add_f64 v[15:16], v[25:26], v[17:18]
	v_fma_f64 v[17:18], v[13:14], s[20:21], v[17:18]
	v_add_f64 v[15:16], v[23:24], v[15:16]
	v_add_f64 v[15:16], v[15:16], -v[17:18]
	v_fma_f64 v[17:18], v[13:14], s[28:29], v[15:16]
	v_add_f64 v[15:16], v[27:28], v[17:18]
	v_add_f64 v[23:24], v[15:16], -v[27:28]
	v_add_f64 v[17:18], v[17:18], -v[23:24]
	s_branch .LBB0_1
.LBB0_10:
	buffer_load_dword v4, off, s[0:3], 0 offset:100
	buffer_load_dword v5, off, s[0:3], 0 offset:112
	;; [unrolled: 1-line block ×14, first 2 shown]
	v_and_b32_e32 v46, 7, v0
	v_and_b32_e32 v17, 0x3f8, v0
	s_movk_i32 s4, 0x210
	v_lshlrev_b32_e32 v28, 3, v0
	v_mad_u32_u24 v17, v46, s4, v17
	v_add_u32_e32 v18, 0x800, v28
	s_mov_b32 s4, 0x667f3bcd
	s_mov_b32 s5, 0x3fe6a09e
	v_lshrrev_b32_e32 v47, 3, v0
	s_mov_b32 s8, 0x54442d18
	s_mov_b32 s10, 0x54442d18
	;; [unrolled: 1-line block ×24, first 2 shown]
	s_movk_i32 s60, 0xff80
	s_mov_b32 s17, 0x7ff00000
	v_mov_b32_e32 v0, 0
	s_mov_b32 s19, 0x3ff921fb
	s_mov_b32 s21, 0x3c91a626
	;; [unrolled: 1-line block ×6, first 2 shown]
	s_movk_i32 s61, 0x1f8
	s_mov_b32 s31, 0x3e21eeb6
	s_mov_b32 s35, 0xbda907db
	;; [unrolled: 1-line block ×12, first 2 shown]
	v_mov_b32_e32 v48, 0x40100000
	v_mov_b32_e32 v49, 0x3ff00000
	s_getpc_b64 s[6:7]
	s_add_u32 s6, s6, __const._Z9fft1D_512P15HIP_vector_typeIdLj2EE.reversed@rel32@lo+8
	s_addc_u32 s7, s7, __const._Z9fft1D_512P15HIP_vector_typeIdLj2EE.reversed@rel32@hi+16
	s_waitcnt vmcnt(3)
	ds_write2_b64 v28, v[1:2], v[13:14] offset1:66
	s_waitcnt vmcnt(2)
	ds_write2_b64 v28, v[11:12], v[3:4] offset0:132 offset1:198
	ds_write2_b64 v18, v[9:10], v[7:8] offset0:8 offset1:74
	s_waitcnt vmcnt(0)
	ds_write2_b64 v18, v[15:16], v[5:6] offset0:140 offset1:206
	s_waitcnt lgkmcnt(0)
	s_barrier
	ds_read2_b64 v[1:4], v17 offset1:8
	ds_read2_b64 v[5:8], v17 offset0:16 offset1:24
	ds_read2_b64 v[9:12], v17 offset0:32 offset1:40
	;; [unrolled: 1-line block ×3, first 2 shown]
	s_waitcnt lgkmcnt(3)
	buffer_store_dword v2, off, s[0:3], 0 offset:4
	buffer_store_dword v1, off, s[0:3], 0
	buffer_store_dword v4, off, s[0:3], 0 offset:20
	buffer_store_dword v3, off, s[0:3], 0 offset:16
	s_waitcnt lgkmcnt(2)
	buffer_store_dword v6, off, s[0:3], 0 offset:36
	buffer_store_dword v5, off, s[0:3], 0 offset:32
	buffer_store_dword v8, off, s[0:3], 0 offset:52
	buffer_store_dword v7, off, s[0:3], 0 offset:48
	s_waitcnt lgkmcnt(1)
	buffer_store_dword v10, off, s[0:3], 0 offset:68
	buffer_store_dword v9, off, s[0:3], 0 offset:64
	;; [unrolled: 5-line block ×3, first 2 shown]
	buffer_store_dword v16, off, s[0:3], 0 offset:116
	buffer_store_dword v15, off, s[0:3], 0 offset:112
	s_waitcnt vmcnt(0)
	s_barrier
	buffer_load_dword v2, off, s[0:3], 0 offset:76
	buffer_load_dword v4, off, s[0:3], 0 offset:108
	;; [unrolled: 1-line block ×16, first 2 shown]
	s_waitcnt vmcnt(6)
	ds_write2_b64 v28, v[9:10], v[1:2] offset1:66
	s_waitcnt vmcnt(2)
	ds_write2_b64 v28, v[13:14], v[3:4] offset0:132 offset1:198
	ds_write2_b64 v18, v[11:12], v[7:8] offset0:8 offset1:74
	s_waitcnt vmcnt(0)
	ds_write2_b64 v18, v[15:16], v[5:6] offset0:140 offset1:206
	s_waitcnt lgkmcnt(0)
	s_barrier
	ds_read2_b64 v[1:4], v17 offset1:8
	ds_read2_b64 v[5:8], v17 offset0:16 offset1:24
	ds_read2_b64 v[9:12], v17 offset0:32 offset1:40
	;; [unrolled: 1-line block ×3, first 2 shown]
	s_waitcnt lgkmcnt(3)
	buffer_store_dword v2, off, s[0:3], 0 offset:12
	buffer_store_dword v1, off, s[0:3], 0 offset:8
	buffer_store_dword v4, off, s[0:3], 0 offset:28
	buffer_store_dword v3, off, s[0:3], 0 offset:24
	s_waitcnt lgkmcnt(2)
	buffer_store_dword v6, off, s[0:3], 0 offset:44
	buffer_store_dword v5, off, s[0:3], 0 offset:40
	buffer_store_dword v8, off, s[0:3], 0 offset:60
	buffer_store_dword v7, off, s[0:3], 0 offset:56
	;; [unrolled: 5-line block ×4, first 2 shown]
	s_waitcnt vmcnt(0)
	s_barrier
	buffer_load_dword v2, off, s[0:3], 0 offset:68
	buffer_load_dword v7, off, s[0:3], 0 offset:76
	;; [unrolled: 1-line block ×8, first 2 shown]
	buffer_load_dword v14, off, s[0:3], 0
	buffer_load_dword v15, off, s[0:3], 0 offset:4
	buffer_load_dword v18, off, s[0:3], 0 offset:8
	;; [unrolled: 1-line block ×23, first 2 shown]
	v_cvt_f64_u32_e32 v[4:5], v47
	s_waitcnt vmcnt(22)
	v_add_f64 v[50:51], v[14:15], v[1:2]
	v_add_f64 v[14:15], v[14:15], -v[1:2]
	s_waitcnt vmcnt(20)
	v_add_f64 v[52:53], v[18:19], v[6:7]
	v_add_f64 v[6:7], v[18:19], -v[6:7]
	s_waitcnt vmcnt(18)
	v_add_f64 v[1:2], v[12:13], v[8:9]
	v_add_f64 v[8:9], v[12:13], -v[8:9]
	s_waitcnt vmcnt(16)
	v_add_f64 v[18:19], v[16:17], v[10:11]
	v_add_f64 v[10:11], v[16:17], -v[10:11]
	s_waitcnt vmcnt(6)
	v_add_f64 v[12:13], v[35:36], v[20:21]
	v_add_f64 v[16:17], v[35:36], -v[20:21]
	s_waitcnt vmcnt(4)
	v_add_f64 v[20:21], v[31:32], -v[24:25]
	v_add_f64 v[24:25], v[31:32], v[24:25]
	s_waitcnt vmcnt(2)
	v_add_f64 v[35:36], v[33:34], -v[26:27]
	v_add_f64 v[26:27], v[33:34], v[26:27]
	;; [unrolled: 3-line block ×3, first 2 shown]
	v_add_f64 v[31:32], v[8:9], v[10:11]
	v_add_f64 v[8:9], v[10:11], -v[8:9]
	v_fma_f64 v[10:11], v[16:17], 0, v[20:21]
	v_fma_f64 v[16:17], v[20:21], 0, -v[16:17]
	v_add_f64 v[56:57], v[50:51], v[12:13]
	v_add_f64 v[33:34], v[1:2], -v[26:27]
	v_add_f64 v[20:21], v[54:55], -v[35:36]
	;; [unrolled: 1-line block ×3, first 2 shown]
	v_add_f64 v[18:19], v[18:19], v[22:23]
	v_add_f64 v[22:23], v[52:53], v[24:25]
	v_add_f64 v[35:36], -v[54:55], -v[35:36]
	v_add_f64 v[26:27], v[1:2], v[26:27]
	v_add_f64 v[12:13], v[50:51], -v[12:13]
	v_add_f64 v[24:25], v[52:53], -v[24:25]
	v_fma_f64 v[50:51], v[33:34], 0, v[37:38]
	v_fma_f64 v[33:34], v[37:38], 0, -v[33:34]
	v_add_f64 v[37:38], v[22:23], v[18:19]
	v_add_f64 v[18:19], v[22:23], -v[18:19]
	v_add_f64 v[22:23], v[14:15], v[10:11]
	v_add_f64 v[10:11], v[14:15], -v[10:11]
	v_add_f64 v[14:15], v[6:7], v[16:17]
	v_add_f64 v[6:7], v[6:7], -v[16:17]
	v_mul_f64 v[16:17], v[20:21], s[4:5]
	v_mul_f64 v[20:21], v[35:36], s[4:5]
	v_add_f64 v[2:3], v[56:57], v[26:27]
	v_add_f64 v[26:27], v[56:57], -v[26:27]
	buffer_store_dword v37, off, s[0:3], 0 offset:8
	buffer_store_dword v38, off, s[0:3], 0 offset:12
	;; [unrolled: 1-line block ×6, first 2 shown]
	v_add_f64 v[26:27], v[24:25], v[33:34]
	v_add_f64 v[24:25], v[24:25], -v[33:34]
	v_fma_f64 v[33:34], v[31:32], s[4:5], v[16:17]
	v_fma_f64 v[16:17], v[31:32], s[4:5], -v[16:17]
	v_fma_f64 v[31:32], v[8:9], s[4:5], v[20:21]
	v_fma_f64 v[8:9], v[8:9], s[4:5], -v[20:21]
	v_add_f64 v[18:19], v[12:13], v[50:51]
	v_add_f64 v[12:13], v[12:13], -v[50:51]
	buffer_store_dword v2, off, s[0:3], 0
	buffer_store_dword v3, off, s[0:3], 0 offset:4
	buffer_store_dword v18, off, s[0:3], 0 offset:32
	buffer_store_dword v19, off, s[0:3], 0 offset:36
	buffer_store_dword v26, off, s[0:3], 0 offset:40
	buffer_store_dword v27, off, s[0:3], 0 offset:44
	buffer_store_dword v12, off, s[0:3], 0 offset:48
	buffer_store_dword v13, off, s[0:3], 0 offset:52
	v_add_f64 v[12:13], v[22:23], v[33:34]
	v_fma_f64 v[20:21], v[16:17], 0, v[8:9]
	v_add_f64 v[18:19], v[14:15], v[31:32]
	v_fma_f64 v[8:9], v[8:9], 0, -v[16:17]
	v_add_f64 v[22:23], v[22:23], -v[33:34]
	v_add_f64 v[14:15], v[14:15], -v[31:32]
	buffer_store_dword v24, off, s[0:3], 0 offset:56
	buffer_store_dword v25, off, s[0:3], 0 offset:60
	;; [unrolled: 1-line block ×6, first 2 shown]
	v_add_f64 v[12:13], v[10:11], v[20:21]
	v_add_f64 v[10:11], v[10:11], -v[20:21]
	v_add_f64 v[16:17], v[6:7], v[8:9]
	v_add_f64 v[6:7], v[6:7], -v[8:9]
	v_mov_b32_e32 v31, 0x7ff80000
	buffer_store_dword v22, off, s[0:3], 0 offset:80
	buffer_store_dword v23, off, s[0:3], 0 offset:84
	;; [unrolled: 1-line block ×12, first 2 shown]
	s_branch .LBB0_12
.LBB0_11:                               ;   in Loop: Header=BB0_12 Depth=1
	s_or_b64 exec, exec, s[4:5]
	v_mul_f64 v[12:13], v[24:25], v[24:25]
	v_mov_b32_e32 v20, s30
	v_mov_b32_e32 v21, s31
	s_mov_b32 s54, s42
	v_and_b32_e32 v1, 1, v34
	v_cmp_eq_u32_e64 s[4:5], 0, v1
	v_cmp_class_f64_e64 vcc, v[10:11], s61
	s_add_i32 s33, s33, 16
	v_mul_f64 v[18:19], v[12:13], 0.5
	v_fma_f64 v[37:38], v[12:13], s[34:35], v[20:21]
	v_mul_f64 v[35:36], v[12:13], v[12:13]
	s_add_u32 s6, s6, 4
	s_addc_u32 s7, s7, 0
	s_cmpk_eq_i32 s33, 0x80
	v_add_f64 v[22:23], -v[18:19], 1.0
	v_fma_f64 v[37:38], v[12:13], v[37:38], s[36:37]
	v_add_f64 v[50:51], -v[22:23], 1.0
	v_fma_f64 v[37:38], v[12:13], v[37:38], s[38:39]
	v_add_f64 v[18:19], v[50:51], -v[18:19]
	v_fma_f64 v[37:38], v[12:13], v[37:38], s[40:41]
	v_mul_f64 v[50:51], v[26:27], 0.5
	v_fma_f64 v[18:19], v[24:25], -v[26:27], v[18:19]
	v_fma_f64 v[37:38], v[12:13], v[37:38], s[42:43]
	v_fma_f64 v[18:19], v[35:36], v[37:38], v[18:19]
	v_mul_f64 v[35:36], v[24:25], -v[12:13]
	v_add_f64 v[22:23], v[22:23], v[18:19]
	v_mov_b32_e32 v18, s44
	v_mov_b32_e32 v19, s45
	v_fma_f64 v[37:38], v[12:13], s[46:47], v[18:19]
	v_fma_f64 v[37:38], v[12:13], v[37:38], s[48:49]
	;; [unrolled: 1-line block ×5, first 2 shown]
	v_fma_f64 v[12:13], v[12:13], v[37:38], -v[26:27]
	v_fma_f64 v[12:13], v[35:36], s[54:55], v[12:13]
	v_add_f64 v[12:13], v[24:25], -v[12:13]
	v_xor_b32_e32 v1, 0x80000000, v13
	v_cndmask_b32_e64 v10, v12, v22, s[4:5]
	v_cndmask_b32_e64 v1, v1, v23, s[4:5]
	v_mul_f64 v[22:23], v[14:15], v[14:15]
	v_lshlrev_b32_e32 v12, 30, v34
	v_and_b32_e32 v12, 0x80000000, v12
	v_xor_b32_e32 v1, v1, v12
	v_cndmask_b32_e32 v13, v31, v1, vcc
	v_and_b32_e32 v1, 1, v32
	v_cmp_eq_u32_e64 s[4:5], 0, v1
	v_cndmask_b32_e32 v12, 0, v10, vcc
	v_mul_f64 v[24:25], v[22:23], 0.5
	v_fma_f64 v[20:21], v[22:23], s[34:35], v[20:21]
	v_fma_f64 v[18:19], v[22:23], s[46:47], v[18:19]
	v_add_f64 v[26:27], -v[24:25], 1.0
	v_fma_f64 v[20:21], v[22:23], v[20:21], s[36:37]
	v_fma_f64 v[18:19], v[22:23], v[18:19], s[48:49]
	v_add_f64 v[33:34], -v[26:27], 1.0
	v_fma_f64 v[20:21], v[22:23], v[20:21], s[38:39]
	v_fma_f64 v[18:19], v[22:23], v[18:19], s[50:51]
	v_add_f64 v[24:25], v[33:34], -v[24:25]
	v_fma_f64 v[20:21], v[22:23], v[20:21], s[40:41]
	v_mul_f64 v[33:34], v[22:23], v[22:23]
	v_fma_f64 v[18:19], v[22:23], v[18:19], s[52:53]
	v_fma_f64 v[24:25], v[14:15], -v[16:17], v[24:25]
	v_fma_f64 v[20:21], v[22:23], v[20:21], s[42:43]
	v_fma_f64 v[20:21], v[33:34], v[20:21], v[24:25]
	v_mul_f64 v[24:25], v[14:15], -v[22:23]
	v_add_f64 v[20:21], v[26:27], v[20:21]
	v_mul_f64 v[26:27], v[16:17], 0.5
	v_fma_f64 v[18:19], v[24:25], v[18:19], v[26:27]
	v_fma_f64 v[16:17], v[22:23], v[18:19], -v[16:17]
	v_fma_f64 v[16:17], v[24:25], s[54:55], v[16:17]
	v_add_f64 v[14:15], v[14:15], -v[16:17]
	v_cndmask_b32_e64 v1, v20, v14, s[4:5]
	v_lshlrev_b32_e32 v14, 30, v32
	v_xor_b32_e32 v11, v14, v11
	v_cndmask_b32_e64 v10, v21, v15, s[4:5]
	v_and_b32_e32 v11, 0x80000000, v11
	v_xor_b32_e32 v11, v10, v11
	v_cndmask_b32_e32 v10, 0, v1, vcc
	v_cndmask_b32_e32 v11, v31, v11, vcc
	s_waitcnt vmcnt(0)
	v_mul_f64 v[14:15], v[6:7], v[10:11]
	v_mov_b32_e32 v1, s62
	v_fma_f64 v[14:15], v[8:9], v[12:13], -v[14:15]
	v_mul_f64 v[8:9], v[8:9], v[10:11]
	v_fma_f64 v[6:7], v[6:7], v[12:13], v[8:9]
	buffer_store_dword v15, v1, s[0:3], 0 offen offset:4
	buffer_store_dword v14, v1, s[0:3], 0 offen
	buffer_store_dword v7, v1, s[0:3], 0 offen offset:12
	buffer_store_dword v6, v1, s[0:3], 0 offen offset:8
	s_cbranch_scc1 .LBB0_20
.LBB0_12:                               ; =>This Inner Loop Header: Depth=1
	v_mov_b32_e32 v1, s33
	buffer_load_dword v8, v1, s[0:3], 0 offen
	buffer_load_dword v9, v1, s[0:3], 0 offen offset:4
	buffer_load_dword v6, v1, s[0:3], 0 offen offset:8
	;; [unrolled: 1-line block ×3, first 2 shown]
	s_load_dword s4, s[6:7], 0x0
	s_mov_b32 s62, s33
                                        ; implicit-def: $vgpr34
                                        ; implicit-def: $vgpr24_vgpr25
                                        ; implicit-def: $vgpr26_vgpr27
	s_waitcnt lgkmcnt(0)
	v_cvt_f64_i32_e32 v[10:11], s4
	v_mul_f64 v[10:11], v[10:11], s[8:9]
	v_ldexp_f64 v[10:11], v[10:11], -6
	v_mul_f64 v[10:11], v[10:11], v[4:5]
	v_trig_preop_f64 v[20:21], |v[10:11]|, 0
	v_trig_preop_f64 v[18:19], |v[10:11]|, 1
	;; [unrolled: 1-line block ×3, first 2 shown]
	v_cmp_nlt_f64_e64 s[56:57], |v[10:11]|, s[12:13]
	v_ldexp_f64 v[22:23], |v[10:11]|, s60
	v_and_b32_e32 v33, 0x7fffffff, v11
	s_and_saveexec_b64 s[4:5], s[56:57]
	s_xor_b64 s[58:59], exec, s[4:5]
	s_cbranch_execz .LBB0_14
; %bb.13:                               ;   in Loop: Header=BB0_12 Depth=1
	v_cmp_ge_f64_e64 vcc, |v[10:11]|, s[14:15]
	s_mov_b32 s18, s10
	s_mov_b32 s23, s21
	v_cndmask_b32_e32 v25, v33, v23, vcc
	v_cndmask_b32_e32 v24, v10, v22, vcc
	v_mul_f64 v[26:27], v[20:21], v[24:25]
	v_mul_f64 v[14:15], v[18:19], v[24:25]
	;; [unrolled: 1-line block ×3, first 2 shown]
	v_fma_f64 v[34:35], v[20:21], v[24:25], -v[26:27]
	v_add_f64 v[36:37], v[14:15], v[34:35]
	v_add_f64 v[54:55], v[36:37], -v[14:15]
	v_add_f64 v[50:51], v[26:27], v[36:37]
	v_add_f64 v[34:35], v[34:35], -v[54:55]
	v_add_f64 v[54:55], v[36:37], -v[54:55]
	v_ldexp_f64 v[16:17], v[50:51], -2
	v_add_f64 v[54:55], v[14:15], -v[54:55]
	v_fract_f64_e32 v[52:53], v[16:17]
	v_cmp_neq_f64_e64 vcc, |v[16:17]|, s[16:17]
	v_add_f64 v[34:35], v[34:35], v[54:55]
	v_fma_f64 v[54:55], v[18:19], v[24:25], -v[14:15]
	v_add_f64 v[14:15], v[50:51], -v[26:27]
	v_fma_f64 v[24:25], v[12:13], v[24:25], -v[56:57]
	v_add_f64 v[58:59], v[56:57], v[54:55]
	v_add_f64 v[26:27], v[36:37], -v[14:15]
	v_add_f64 v[60:61], v[58:59], v[34:35]
	v_add_f64 v[36:37], v[60:61], -v[58:59]
	;; [unrolled: 2-line block ×3, first 2 shown]
	v_add_f64 v[36:37], v[60:61], -v[36:37]
	v_add_f64 v[26:27], v[14:15], -v[26:27]
	v_add_f64 v[36:37], v[58:59], -v[36:37]
	v_add_f64 v[26:27], v[60:61], -v[26:27]
	v_add_f64 v[34:35], v[34:35], v[36:37]
	v_add_f64 v[36:37], v[58:59], -v[56:57]
	v_add_f64 v[50:51], v[54:55], -v[36:37]
	;; [unrolled: 1-line block ×4, first 2 shown]
	v_add_f64 v[36:37], v[50:51], v[36:37]
	v_add_f64 v[34:35], v[36:37], v[34:35]
	;; [unrolled: 1-line block ×4, first 2 shown]
	v_ldexp_f64 v[26:27], v[52:53], 2
	v_cndmask_b32_e32 v17, 0, v27, vcc
	v_cndmask_b32_e32 v16, 0, v26, vcc
	v_add_f64 v[26:27], v[14:15], v[16:17]
	v_cmp_gt_f64_e32 vcc, 0, v[26:27]
	v_cndmask_b32_e32 v1, 0, v48, vcc
	v_add_f64 v[16:17], v[16:17], v[0:1]
	v_add_f64 v[26:27], v[14:15], v[16:17]
	v_cvt_i32_f64_e32 v1, v[26:27]
	v_cvt_f64_i32_e32 v[26:27], v1
	v_add_f64 v[16:17], v[16:17], -v[26:27]
	v_add_f64 v[26:27], v[14:15], v[16:17]
	v_add_f64 v[16:17], v[26:27], -v[16:17]
	v_cmp_le_f64_e32 vcc, 0.5, v[26:27]
	v_add_f64 v[14:15], v[14:15], -v[16:17]
	v_addc_co_u32_e64 v34, s[4:5], 0, v1, vcc
	v_cndmask_b32_e32 v1, 0, v49, vcc
	v_add_f64 v[16:17], v[26:27], -v[0:1]
	v_add_f64 v[14:15], v[24:25], v[14:15]
	v_add_f64 v[24:25], v[16:17], v[14:15]
	v_add_f64 v[16:17], v[24:25], -v[16:17]
	v_add_f64 v[14:15], v[14:15], -v[16:17]
	v_mul_f64 v[16:17], v[24:25], s[18:19]
	v_fma_f64 v[26:27], v[24:25], s[18:19], -v[16:17]
	v_fma_f64 v[24:25], v[24:25], s[22:23], v[26:27]
	v_fma_f64 v[14:15], v[14:15], s[18:19], v[24:25]
	v_add_f64 v[24:25], v[16:17], v[14:15]
	v_add_f64 v[16:17], v[24:25], -v[16:17]
	v_add_f64 v[26:27], v[14:15], -v[16:17]
	s_andn2_saveexec_b64 s[4:5], s[58:59]
	s_cbranch_execz .LBB0_16
	s_branch .LBB0_15
.LBB0_14:                               ;   in Loop: Header=BB0_12 Depth=1
	s_andn2_saveexec_b64 s[4:5], s[58:59]
	s_cbranch_execz .LBB0_16
.LBB0_15:                               ;   in Loop: Header=BB0_12 Depth=1
	v_mul_f64 v[14:15], |v[10:11]|, s[24:25]
	s_mov_b32 s20, s26
	v_rndne_f64_e32 v[14:15], v[14:15]
	v_fma_f64 v[16:17], v[14:15], s[10:11], |v[10:11]|
	v_mul_f64 v[24:25], v[14:15], s[26:27]
	v_add_f64 v[26:27], v[16:17], v[24:25]
	v_add_f64 v[34:35], v[16:17], -v[26:27]
	v_fma_f64 v[16:17], v[14:15], s[26:27], v[16:17]
	v_add_f64 v[34:35], v[34:35], v[24:25]
	v_add_f64 v[26:27], v[26:27], -v[16:17]
	v_fma_f64 v[24:25], v[14:15], s[20:21], v[24:25]
	v_add_f64 v[26:27], v[26:27], v[34:35]
	v_cvt_i32_f64_e32 v34, v[14:15]
	v_add_f64 v[24:25], v[26:27], -v[24:25]
	v_fma_f64 v[26:27], v[14:15], s[28:29], v[24:25]
	v_add_f64 v[24:25], v[16:17], v[26:27]
	v_add_f64 v[16:17], v[24:25], -v[16:17]
	v_add_f64 v[26:27], v[26:27], -v[16:17]
.LBB0_16:                               ;   in Loop: Header=BB0_12 Depth=1
	s_or_b64 exec, exec, s[4:5]
                                        ; implicit-def: $vgpr32
                                        ; implicit-def: $vgpr14_vgpr15
                                        ; implicit-def: $vgpr16_vgpr17
	s_and_saveexec_b64 s[4:5], s[56:57]
	s_xor_b64 s[56:57], exec, s[4:5]
	s_cbranch_execz .LBB0_18
; %bb.17:                               ;   in Loop: Header=BB0_12 Depth=1
	v_cmp_ge_f64_e64 vcc, |v[10:11]|, s[14:15]
	s_mov_b32 s18, s10
	s_mov_b32 s23, s21
	v_cndmask_b32_e32 v15, v33, v23, vcc
	v_cndmask_b32_e32 v14, v10, v22, vcc
	v_mul_f64 v[16:17], v[20:21], v[14:15]
	v_mul_f64 v[22:23], v[18:19], v[14:15]
	v_mul_f64 v[50:51], v[12:13], v[14:15]
	v_fma_f64 v[20:21], v[20:21], v[14:15], -v[16:17]
	v_fma_f64 v[18:19], v[18:19], v[14:15], -v[22:23]
	v_fma_f64 v[12:13], v[12:13], v[14:15], -v[50:51]
	v_add_f64 v[32:33], v[22:23], v[20:21]
	v_add_f64 v[35:36], v[32:33], -v[22:23]
	v_add_f64 v[52:53], v[16:17], v[32:33]
	v_add_f64 v[37:38], v[32:33], -v[35:36]
	v_add_f64 v[20:21], v[20:21], -v[35:36]
	v_add_f64 v[35:36], v[50:51], v[18:19]
	v_add_f64 v[16:17], v[52:53], -v[16:17]
	v_add_f64 v[22:23], v[22:23], -v[37:38]
	v_ldexp_f64 v[37:38], v[52:53], -2
	v_add_f64 v[54:55], v[35:36], -v[50:51]
	v_add_f64 v[16:17], v[32:33], -v[16:17]
	v_add_f64 v[20:21], v[20:21], v[22:23]
	v_fract_f64_e32 v[22:23], v[37:38]
	v_cmp_neq_f64_e64 vcc, |v[37:38]|, s[16:17]
	v_add_f64 v[18:19], v[18:19], -v[54:55]
	v_add_f64 v[32:33], v[35:36], v[20:21]
	v_ldexp_f64 v[22:23], v[22:23], 2
	v_add_f64 v[37:38], v[16:17], v[32:33]
	v_cndmask_b32_e32 v23, 0, v23, vcc
	v_cndmask_b32_e32 v22, 0, v22, vcc
	v_add_f64 v[56:57], v[32:33], -v[35:36]
	v_add_f64 v[52:53], v[37:38], v[22:23]
	v_add_f64 v[14:15], v[37:38], -v[16:17]
	v_add_f64 v[58:59], v[32:33], -v[56:57]
	;; [unrolled: 1-line block ×3, first 2 shown]
	v_cmp_gt_f64_e32 vcc, 0, v[52:53]
	v_add_f64 v[52:53], v[35:36], -v[54:55]
	v_add_f64 v[14:15], v[32:33], -v[14:15]
	;; [unrolled: 1-line block ×3, first 2 shown]
	v_cndmask_b32_e32 v1, 0, v48, vcc
	v_add_f64 v[22:23], v[22:23], v[0:1]
	v_add_f64 v[52:53], v[50:51], -v[52:53]
	v_add_f64 v[20:21], v[20:21], v[35:36]
	v_add_f64 v[60:61], v[37:38], v[22:23]
	;; [unrolled: 1-line block ×3, first 2 shown]
	v_cvt_i32_f64_e32 v1, v[60:61]
	v_add_f64 v[16:17], v[18:19], v[20:21]
	v_cvt_f64_i32_e32 v[54:55], v1
	v_add_f64 v[22:23], v[22:23], -v[54:55]
	v_add_f64 v[12:13], v[12:13], v[16:17]
	v_add_f64 v[18:19], v[37:38], v[22:23]
	;; [unrolled: 1-line block ×3, first 2 shown]
	v_add_f64 v[16:17], v[18:19], -v[22:23]
	v_cmp_le_f64_e32 vcc, 0.5, v[18:19]
	v_add_f64 v[14:15], v[37:38], -v[16:17]
	v_addc_co_u32_e64 v32, s[4:5], 0, v1, vcc
	v_cndmask_b32_e32 v1, 0, v49, vcc
	v_add_f64 v[12:13], v[12:13], v[14:15]
	v_add_f64 v[14:15], v[18:19], -v[0:1]
	v_add_f64 v[16:17], v[14:15], v[12:13]
	v_mul_f64 v[18:19], v[16:17], s[18:19]
	v_add_f64 v[14:15], v[16:17], -v[14:15]
	v_fma_f64 v[20:21], v[16:17], s[18:19], -v[18:19]
	v_add_f64 v[12:13], v[12:13], -v[14:15]
	v_fma_f64 v[14:15], v[16:17], s[22:23], v[20:21]
	v_fma_f64 v[12:13], v[12:13], s[18:19], v[14:15]
	v_add_f64 v[14:15], v[18:19], v[12:13]
	v_add_f64 v[16:17], v[14:15], -v[18:19]
	v_add_f64 v[16:17], v[12:13], -v[16:17]
	s_andn2_saveexec_b64 s[4:5], s[56:57]
	s_cbranch_execz .LBB0_11
	s_branch .LBB0_19
.LBB0_18:                               ;   in Loop: Header=BB0_12 Depth=1
	s_andn2_saveexec_b64 s[4:5], s[56:57]
	s_cbranch_execz .LBB0_11
.LBB0_19:                               ;   in Loop: Header=BB0_12 Depth=1
	v_mul_f64 v[12:13], |v[10:11]|, s[24:25]
	s_mov_b32 s20, s26
	v_rndne_f64_e32 v[12:13], v[12:13]
	v_fma_f64 v[14:15], v[12:13], s[10:11], |v[10:11]|
	v_mul_f64 v[16:17], v[12:13], s[26:27]
	v_cvt_i32_f64_e32 v32, v[12:13]
	v_fma_f64 v[22:23], v[12:13], s[26:27], v[14:15]
	v_add_f64 v[18:19], v[14:15], v[16:17]
	v_add_f64 v[20:21], v[14:15], -v[18:19]
	v_add_f64 v[18:19], v[18:19], -v[22:23]
	v_add_f64 v[14:15], v[20:21], v[16:17]
	v_fma_f64 v[16:17], v[12:13], s[20:21], v[16:17]
	v_add_f64 v[14:15], v[18:19], v[14:15]
	v_add_f64 v[14:15], v[14:15], -v[16:17]
	v_fma_f64 v[16:17], v[12:13], s[28:29], v[14:15]
	v_add_f64 v[14:15], v[22:23], v[16:17]
	v_add_f64 v[18:19], v[14:15], -v[22:23]
	v_add_f64 v[16:17], v[16:17], -v[18:19]
	s_branch .LBB0_11
.LBB0_20:
	buffer_load_dword v0, off, s[0:3], 0 offset:16
	buffer_load_dword v1, off, s[0:3], 0 offset:20
	;; [unrolled: 1-line block ×14, first 2 shown]
	v_mul_u32_u24_e32 v9, 0x240, v47
	v_lshl_or_b32 v9, v46, 3, v9
	v_add_u32_e32 v8, 0x800, v28
	s_mov_b32 s4, 0x667f3bcd
	s_mov_b32 s5, 0x3fe6a09e
	s_waitcnt vmcnt(6)
	ds_write2_b64 v28, v[2:3], v[10:11] offset1:72
	s_waitcnt vmcnt(3)
	ds_write2_b64 v28, v[4:5], v[12:13] offset0:144 offset1:216
	s_waitcnt vmcnt(1)
	ds_write2_b64 v8, v[0:1], v[16:17] offset0:32 offset1:104
	;; [unrolled: 2-line block ×3, first 2 shown]
	s_waitcnt lgkmcnt(0)
	s_barrier
	ds_read2_b64 v[0:3], v9 offset1:8
	ds_read2_b64 v[4:7], v9 offset0:16 offset1:24
	ds_read2_b64 v[10:13], v9 offset0:32 offset1:40
	;; [unrolled: 1-line block ×3, first 2 shown]
	s_waitcnt lgkmcnt(3)
	buffer_store_dword v1, off, s[0:3], 0 offset:4
	buffer_store_dword v0, off, s[0:3], 0
	buffer_store_dword v3, off, s[0:3], 0 offset:20
	buffer_store_dword v2, off, s[0:3], 0 offset:16
	s_waitcnt lgkmcnt(2)
	buffer_store_dword v5, off, s[0:3], 0 offset:36
	buffer_store_dword v4, off, s[0:3], 0 offset:32
	buffer_store_dword v7, off, s[0:3], 0 offset:52
	buffer_store_dword v6, off, s[0:3], 0 offset:48
	s_waitcnt lgkmcnt(1)
	buffer_store_dword v11, off, s[0:3], 0 offset:68
	buffer_store_dword v10, off, s[0:3], 0 offset:64
	;; [unrolled: 5-line block ×3, first 2 shown]
	buffer_store_dword v17, off, s[0:3], 0 offset:116
	buffer_store_dword v16, off, s[0:3], 0 offset:112
	s_waitcnt vmcnt(0)
	s_barrier
	buffer_load_dword v1, off, s[0:3], 0 offset:76
	buffer_load_dword v3, off, s[0:3], 0 offset:108
	;; [unrolled: 1-line block ×16, first 2 shown]
	s_waitcnt vmcnt(6)
	ds_write2_b64 v28, v[10:11], v[0:1] offset1:72
	s_waitcnt vmcnt(2)
	ds_write2_b64 v28, v[14:15], v[2:3] offset0:144 offset1:216
	ds_write2_b64 v8, v[12:13], v[6:7] offset0:32 offset1:104
	s_waitcnt vmcnt(0)
	ds_write2_b64 v8, v[16:17], v[4:5] offset0:176 offset1:248
	s_waitcnt lgkmcnt(0)
	s_barrier
	buffer_load_dword v1, off, s[0:3], 0 offset:52
	buffer_load_dword v4, off, s[0:3], 0 offset:68
	buffer_load_dword v6, off, s[0:3], 0 offset:84
	buffer_load_dword v8, off, s[0:3], 0 offset:100
	buffer_load_dword v26, off, s[0:3], 0 offset:112
	buffer_load_dword v7, off, s[0:3], 0 offset:96
	buffer_load_dword v5, off, s[0:3], 0 offset:80
	buffer_load_dword v3, off, s[0:3], 0 offset:64
	buffer_load_dword v27, off, s[0:3], 0 offset:116
	buffer_load_dword v31, off, s[0:3], 0
	buffer_load_dword v32, off, s[0:3], 0 offset:4
	buffer_load_dword v33, off, s[0:3], 0 offset:16
	;; [unrolled: 1-line block ×6, first 2 shown]
	ds_read2_b64 v[10:13], v9 offset1:8
	ds_read2_b64 v[14:17], v9 offset0:32 offset1:40
	ds_read2_b64 v[18:21], v9 offset0:16 offset1:24
	;; [unrolled: 1-line block ×3, first 2 shown]
	s_waitcnt lgkmcnt(2)
	v_add_f64 v[37:38], v[10:11], v[14:15]
	v_add_f64 v[46:47], v[12:13], v[16:17]
	s_waitcnt lgkmcnt(0)
	v_add_f64 v[48:49], v[18:19], v[22:23]
	v_add_f64 v[50:51], v[20:21], v[24:25]
	v_add_f64 v[9:10], v[10:11], -v[14:15]
	v_add_f64 v[11:12], v[12:13], -v[16:17]
	;; [unrolled: 1-line block ×4, first 2 shown]
	v_add_f64 v[52:53], v[37:38], v[48:49]
	v_add_f64 v[54:55], v[46:47], v[50:51]
	v_add_f64 v[20:21], v[37:38], -v[48:49]
	v_add_f64 v[22:23], v[46:47], -v[50:51]
	v_add_f64 v[56:57], v[52:53], v[54:55]
	v_add_f64 v[14:15], v[52:53], -v[54:55]
	buffer_store_dword v57, off, s[0:3], 0 offset:12
	buffer_store_dword v56, off, s[0:3], 0 offset:8
	;; [unrolled: 1-line block ×4, first 2 shown]
	buffer_load_dword v2, off, s[0:3], 0 offset:8
	s_waitcnt vmcnt(10)
	v_add_f64 v[24:25], v[31:32], v[3:4]
	v_add_f64 v[3:4], v[31:32], -v[3:4]
	s_waitcnt vmcnt(8)
	v_add_f64 v[37:38], v[33:34], -v[5:6]
	s_waitcnt vmcnt(7)
	v_add_f64 v[46:47], v[0:1], -v[26:27]
	v_add_f64 v[5:6], v[33:34], v[5:6]
	s_waitcnt vmcnt(5)
	v_add_f64 v[33:34], v[35:36], v[7:8]
	v_add_f64 v[0:1], v[0:1], v[26:27]
	v_add_f64 v[7:8], v[35:36], -v[7:8]
	v_add_f64 v[13:14], v[37:38], v[11:12]
	v_add_f64 v[26:27], v[18:19], -v[46:47]
	v_add_f64 v[18:19], -v[18:19], -v[46:47]
	v_add_f64 v[31:32], v[24:25], v[33:34]
	v_add_f64 v[35:36], v[5:6], v[0:1]
	v_add_f64 v[0:1], v[5:6], -v[0:1]
	v_add_f64 v[5:6], v[11:12], -v[37:38]
	v_fma_f64 v[11:12], v[7:8], 0, v[16:17]
	v_fma_f64 v[7:8], v[16:17], 0, -v[7:8]
	v_add_f64 v[15:16], v[24:25], -v[33:34]
	v_mul_f64 v[24:25], v[26:27], s[4:5]
	v_mul_f64 v[17:18], v[18:19], s[4:5]
	v_add_f64 v[26:27], v[31:32], v[35:36]
	v_fma_f64 v[33:34], v[0:1], 0, v[22:23]
	v_fma_f64 v[0:1], v[22:23], 0, -v[0:1]
	v_add_f64 v[31:32], v[31:32], -v[35:36]
	v_add_f64 v[22:23], v[3:4], v[11:12]
	v_add_f64 v[35:36], v[9:10], v[7:8]
	v_add_f64 v[3:4], v[3:4], -v[11:12]
	v_add_f64 v[7:8], v[9:10], -v[7:8]
	buffer_store_dword v26, off, s[0:3], 0
	buffer_store_dword v27, off, s[0:3], 0 offset:4
	buffer_store_dword v32, off, s[0:3], 0 offset:20
	;; [unrolled: 1-line block ×3, first 2 shown]
	v_add_f64 v[9:10], v[15:16], v[33:34]
	v_add_f64 v[11:12], v[20:21], v[0:1]
	v_add_f64 v[0:1], v[20:21], -v[0:1]
	v_fma_f64 v[19:20], v[13:14], s[4:5], v[24:25]
	v_fma_f64 v[26:27], v[5:6], s[4:5], v[17:18]
	v_fma_f64 v[13:14], v[13:14], s[4:5], -v[24:25]
	v_fma_f64 v[5:6], v[5:6], s[4:5], -v[17:18]
	v_add_f64 v[15:16], v[15:16], -v[33:34]
	buffer_store_dword v10, off, s[0:3], 0 offset:36
	buffer_store_dword v9, off, s[0:3], 0 offset:32
	;; [unrolled: 1-line block ×6, first 2 shown]
	v_add_f64 v[9:10], v[22:23], v[19:20]
	v_add_f64 v[11:12], v[35:36], v[26:27]
	v_fma_f64 v[15:16], v[13:14], 0, v[5:6]
	v_fma_f64 v[5:6], v[5:6], 0, -v[13:14]
	buffer_store_dword v0, off, s[0:3], 0 offset:56
	buffer_store_dword v1, off, s[0:3], 0 offset:60
	v_add_f64 v[0:1], v[22:23], -v[19:20]
	v_add_f64 v[17:18], v[35:36], -v[26:27]
	buffer_store_dword v9, off, s[0:3], 0 offset:64
	buffer_store_dword v10, off, s[0:3], 0 offset:68
	;; [unrolled: 1-line block ×8, first 2 shown]
	v_add_f64 v[9:10], v[3:4], v[15:16]
	v_add_f64 v[11:12], v[7:8], v[5:6]
	v_add_f64 v[21:22], v[3:4], -v[15:16]
	v_add_f64 v[23:24], v[7:8], -v[5:6]
	buffer_load_dword v0, off, s[0:3], 0
	buffer_load_dword v1, off, s[0:3], 0 offset:4
	buffer_load_dword v3, off, s[0:3], 0 offset:12
	buffer_load_dword v7, v42, s[0:3], 0 offen offset:12
	buffer_load_dword v8, v41, s[0:3], 0 offen
	buffer_load_dword v6, v42, s[0:3], 0 offen offset:8
	buffer_load_dword v5, v42, s[0:3], 0 offen offset:4
	buffer_load_dword v4, v42, s[0:3], 0 offen
	buffer_load_dword v13, v39, s[0:3], 0 offen offset:4
	buffer_load_dword v14, v39, s[0:3], 0 offen offset:8
	;; [unrolled: 1-line block ×3, first 2 shown]
	buffer_load_dword v16, v45, s[0:3], 0 offen
	buffer_load_dword v17, v45, s[0:3], 0 offen offset:4
	buffer_load_dword v18, v45, s[0:3], 0 offen offset:8
                                        ; kill: killed $vgpr42
	buffer_load_dword v19, v45, s[0:3], 0 offen offset:12
	buffer_load_dword v20, v40, s[0:3], 0 offen
	s_nop 0
	buffer_store_dword v10, off, s[0:3], 0 offset:100
	buffer_store_dword v9, off, s[0:3], 0 offset:96
	;; [unrolled: 1-line block ×8, first 2 shown]
	buffer_load_dword v11, v41, s[0:3], 0 offen offset:12
	s_nop 0
	buffer_load_dword v24, v44, s[0:3], 0 offen
	buffer_load_dword v25, v44, s[0:3], 0 offen offset:4
	buffer_load_dword v26, v44, s[0:3], 0 offen offset:8
	;; [unrolled: 1-line block ×3, first 2 shown]
	buffer_load_dword v12, v39, s[0:3], 0 offen
	buffer_load_dword v10, v41, s[0:3], 0 offen offset:8
	buffer_load_dword v9, v41, s[0:3], 0 offen offset:4
                                        ; kill: killed $vgpr41
                                        ; kill: killed $vgpr44
                                        ; kill: killed $vgpr39
	buffer_load_dword v21, v40, s[0:3], 0 offen offset:4
	buffer_load_dword v22, v40, s[0:3], 0 offen offset:8
	;; [unrolled: 1-line block ×3, first 2 shown]
                                        ; kill: killed $vgpr40
	buffer_load_dword v31, v43, s[0:3], 0 offen
	buffer_load_dword v32, v43, s[0:3], 0 offen offset:4
	buffer_load_dword v33, v43, s[0:3], 0 offen offset:8
	;; [unrolled: 1-line block ×3, first 2 shown]
	s_movk_i32 s4, 0x1400
	v_add_co_u32_e32 v35, vcc, s4, v29
	v_addc_co_u32_e32 v36, vcc, 0, v30, vcc
	s_waitcnt vmcnt(36)
	global_store_dwordx4 v[29:30], v[0:3], off
	s_waitcnt vmcnt(32)
	global_store_dwordx4 v[35:36], v[4:7], off offset:-4096
	s_waitcnt vmcnt(26)
	global_store_dwordx4 v[35:36], v[16:19], off
	s_waitcnt vmcnt(7)
	global_store_dwordx4 v[35:36], v[20:23], off offset:1024
	global_store_dwordx4 v[35:36], v[8:11], off offset:-3072
	global_store_dwordx4 v[35:36], v[24:27], off offset:-2048
	;; [unrolled: 1-line block ×3, first 2 shown]
	s_waitcnt vmcnt(7)
	global_store_dwordx4 v[35:36], v[31:34], off offset:2048
	s_endpgm
	.section	.rodata,"a",@progbits
	.p2align	6, 0x0
	.amdhsa_kernel _Z9fft1D_512P15HIP_vector_typeIdLj2EE
		.amdhsa_group_segment_fixed_size 4608
		.amdhsa_private_segment_fixed_size 144
		.amdhsa_kernarg_size 8
		.amdhsa_user_sgpr_count 6
		.amdhsa_user_sgpr_private_segment_buffer 1
		.amdhsa_user_sgpr_dispatch_ptr 0
		.amdhsa_user_sgpr_queue_ptr 0
		.amdhsa_user_sgpr_kernarg_segment_ptr 1
		.amdhsa_user_sgpr_dispatch_id 0
		.amdhsa_user_sgpr_flat_scratch_init 0
		.amdhsa_user_sgpr_private_segment_size 0
		.amdhsa_uses_dynamic_stack 0
		.amdhsa_system_sgpr_private_segment_wavefront_offset 1
		.amdhsa_system_sgpr_workgroup_id_x 1
		.amdhsa_system_sgpr_workgroup_id_y 0
		.amdhsa_system_sgpr_workgroup_id_z 0
		.amdhsa_system_sgpr_workgroup_info 0
		.amdhsa_system_vgpr_workitem_id 0
		.amdhsa_next_free_vgpr 62
		.amdhsa_next_free_sgpr 63
		.amdhsa_reserve_vcc 1
		.amdhsa_reserve_flat_scratch 0
		.amdhsa_float_round_mode_32 0
		.amdhsa_float_round_mode_16_64 0
		.amdhsa_float_denorm_mode_32 3
		.amdhsa_float_denorm_mode_16_64 3
		.amdhsa_dx10_clamp 1
		.amdhsa_ieee_mode 1
		.amdhsa_fp16_overflow 0
		.amdhsa_exception_fp_ieee_invalid_op 0
		.amdhsa_exception_fp_denorm_src 0
		.amdhsa_exception_fp_ieee_div_zero 0
		.amdhsa_exception_fp_ieee_overflow 0
		.amdhsa_exception_fp_ieee_underflow 0
		.amdhsa_exception_fp_ieee_inexact 0
		.amdhsa_exception_int_div_zero 0
	.end_amdhsa_kernel
	.text
.Lfunc_end0:
	.size	_Z9fft1D_512P15HIP_vector_typeIdLj2EE, .Lfunc_end0-_Z9fft1D_512P15HIP_vector_typeIdLj2EE
                                        ; -- End function
	.set _Z9fft1D_512P15HIP_vector_typeIdLj2EE.num_vgpr, 62
	.set _Z9fft1D_512P15HIP_vector_typeIdLj2EE.num_agpr, 0
	.set _Z9fft1D_512P15HIP_vector_typeIdLj2EE.numbered_sgpr, 63
	.set _Z9fft1D_512P15HIP_vector_typeIdLj2EE.num_named_barrier, 0
	.set _Z9fft1D_512P15HIP_vector_typeIdLj2EE.private_seg_size, 144
	.set _Z9fft1D_512P15HIP_vector_typeIdLj2EE.uses_vcc, 1
	.set _Z9fft1D_512P15HIP_vector_typeIdLj2EE.uses_flat_scratch, 0
	.set _Z9fft1D_512P15HIP_vector_typeIdLj2EE.has_dyn_sized_stack, 0
	.set _Z9fft1D_512P15HIP_vector_typeIdLj2EE.has_recursion, 0
	.set _Z9fft1D_512P15HIP_vector_typeIdLj2EE.has_indirect_call, 0
	.section	.AMDGPU.csdata,"",@progbits
; Kernel info:
; codeLenInByte = 9888
; TotalNumSgprs: 67
; NumVgprs: 62
; ScratchSize: 144
; MemoryBound: 0
; FloatMode: 240
; IeeeMode: 1
; LDSByteSize: 4608 bytes/workgroup (compile time only)
; SGPRBlocks: 8
; VGPRBlocks: 15
; NumSGPRsForWavesPerEU: 67
; NumVGPRsForWavesPerEU: 62
; Occupancy: 4
; WaveLimiterHint : 1
; COMPUTE_PGM_RSRC2:SCRATCH_EN: 1
; COMPUTE_PGM_RSRC2:USER_SGPR: 6
; COMPUTE_PGM_RSRC2:TRAP_HANDLER: 0
; COMPUTE_PGM_RSRC2:TGID_X_EN: 1
; COMPUTE_PGM_RSRC2:TGID_Y_EN: 0
; COMPUTE_PGM_RSRC2:TGID_Z_EN: 0
; COMPUTE_PGM_RSRC2:TIDIG_COMP_CNT: 0
	.text
	.protected	_Z10ifft1D_512P15HIP_vector_typeIdLj2EE ; -- Begin function _Z10ifft1D_512P15HIP_vector_typeIdLj2EE
	.globl	_Z10ifft1D_512P15HIP_vector_typeIdLj2EE
	.p2align	8
	.type	_Z10ifft1D_512P15HIP_vector_typeIdLj2EE,@function
_Z10ifft1D_512P15HIP_vector_typeIdLj2EE: ; @_Z10ifft1D_512P15HIP_vector_typeIdLj2EE
; %bb.0:
	s_load_dwordx2 s[4:5], s[4:5], 0x0
	v_lshl_add_u32 v1, s6, 9, v0
	v_ashrrev_i32_e32 v2, 31, v1
	v_lshlrev_b64 v[1:2], 4, v[1:2]
	s_add_u32 s0, s0, s7
	s_waitcnt lgkmcnt(0)
	v_mov_b32_e32 v3, s5
	v_add_co_u32_e32 v29, vcc, s4, v1
	v_addc_co_u32_e32 v30, vcc, v3, v2, vcc
	global_load_dwordx4 v[9:12], v[29:30], off
	global_load_dwordx4 v[1:4], v[29:30], off offset:1024
	global_load_dwordx4 v[5:8], v[29:30], off offset:2048
	s_movk_i32 s4, 0x1000
	v_add_co_u32_e32 v31, vcc, s4, v29
	v_addc_co_u32_e32 v32, vcc, 0, v30, vcc
	global_load_dwordx4 v[13:16], v[29:30], off offset:3072
	global_load_dwordx4 v[25:28], v[31:32], off offset:1024
	;; [unrolled: 1-line block ×4, first 2 shown]
	s_addc_u32 s1, s1, 0
	global_load_dwordx4 v[31:34], v[31:32], off
	s_mov_b32 s4, 0x667f3bcd
	s_mov_b32 s5, 0x3fe6a09e
	s_movk_i32 s18, 0x50
	s_movk_i32 s20, 0x60
	;; [unrolled: 1-line block ×3, first 2 shown]
	s_mov_b32 s8, 0x54442d18
	s_mov_b32 s10, 0x54442d18
	;; [unrolled: 1-line block ×20, first 2 shown]
	v_mov_b32_e32 v39, 16
	v_mov_b32_e32 v41, 32
	v_mov_b32_e32 v40, 48
	v_mov_b32_e32 v42, 64
	s_mov_b32 s9, 0x401921fb
	s_mov_b32 s11, 0xbff921fb
	;; [unrolled: 1-line block ×4, first 2 shown]
	s_movk_i32 s58, 0xff80
	s_mov_b32 s17, 0x7ff00000
	s_mov_b32 s19, 0x3ff921fb
	;; [unrolled: 1-line block ×7, first 2 shown]
	s_movk_i32 s59, 0x1f8
	s_mov_b32 s31, 0x3e21eeb6
	s_mov_b32 s35, 0xbda907db
	v_mov_b32_e32 v45, s18
	v_mov_b32_e32 v44, s20
	;; [unrolled: 1-line block ×3, first 2 shown]
	s_mov_b32 s37, 0xbe927e4f
	s_mov_b32 s39, 0x3efa01a0
	;; [unrolled: 1-line block ×10, first 2 shown]
	s_getpc_b64 s[6:7]
	s_add_u32 s6, s6, __const._Z10ifft1D_512P15HIP_vector_typeIdLj2EE.reversed@rel32@lo+8
	s_addc_u32 s7, s7, __const._Z10ifft1D_512P15HIP_vector_typeIdLj2EE.reversed@rel32@hi+16
	s_waitcnt vmcnt(7)
	buffer_store_dword v12, off, s[0:3], 0 offset:12
	buffer_store_dword v11, off, s[0:3], 0 offset:8
	;; [unrolled: 1-line block ×3, first 2 shown]
	buffer_store_dword v9, off, s[0:3], 0
	buffer_load_dword v35, off, s[0:3], 0
	buffer_load_dword v36, off, s[0:3], 0 offset:4
	buffer_load_dword v37, off, s[0:3], 0 offset:8
	;; [unrolled: 1-line block ×3, first 2 shown]
	s_waitcnt vmcnt(14)
	buffer_store_dword v4, off, s[0:3], 0 offset:28
	buffer_store_dword v3, off, s[0:3], 0 offset:24
	buffer_store_dword v2, off, s[0:3], 0 offset:20
	buffer_store_dword v1, off, s[0:3], 0 offset:16
	s_waitcnt vmcnt(17)
	buffer_store_dword v8, off, s[0:3], 0 offset:44
	buffer_store_dword v7, off, s[0:3], 0 offset:40
	buffer_store_dword v6, off, s[0:3], 0 offset:36
	buffer_store_dword v5, off, s[0:3], 0 offset:32
	;; [unrolled: 5-line block ×4, first 2 shown]
	v_add_f64 v[46:47], v[1:2], v[25:26]
	v_add_f64 v[48:49], v[3:4], v[27:28]
	v_add_f64 v[1:2], v[1:2], -v[25:26]
	v_add_f64 v[3:4], v[3:4], -v[27:28]
	s_waitcnt vmcnt(26)
	v_add_f64 v[25:26], v[5:6], v[21:22]
	v_add_f64 v[27:28], v[7:8], v[23:24]
	v_add_f64 v[5:6], v[5:6], -v[21:22]
	v_add_f64 v[7:8], v[7:8], -v[23:24]
	buffer_store_dword v24, off, s[0:3], 0 offset:108
	buffer_store_dword v23, off, s[0:3], 0 offset:104
	;; [unrolled: 1-line block ×3, first 2 shown]
	s_waitcnt vmcnt(28)
	v_add_f64 v[22:23], v[13:14], -v[17:18]
	v_add_f64 v[50:51], v[15:16], -v[19:20]
	buffer_store_dword v21, off, s[0:3], 0 offset:96
	v_add_f64 v[13:14], v[13:14], v[17:18]
	v_add_f64 v[15:16], v[15:16], v[19:20]
	buffer_store_dword v20, off, s[0:3], 0 offset:124
	buffer_store_dword v19, off, s[0:3], 0 offset:120
	;; [unrolled: 1-line block ×4, first 2 shown]
	s_waitcnt vmcnt(32)
	buffer_store_dword v34, off, s[0:3], 0 offset:76
	buffer_store_dword v33, off, s[0:3], 0 offset:72
	;; [unrolled: 1-line block ×4, first 2 shown]
	v_cvt_f64_u32_e32 v[11:12], v0
	v_add_f64 v[17:18], -v[22:23], -v[50:51]
	v_add_f64 v[19:20], v[22:23], -v[50:51]
	v_add_f64 v[21:22], v[1:2], -v[3:4]
	v_add_f64 v[1:2], v[1:2], v[3:4]
	v_add_f64 v[3:4], v[46:47], -v[13:14]
	v_add_f64 v[23:24], v[48:49], -v[15:16]
	v_fma_f64 v[50:51], v[5:6], 0, -v[7:8]
	v_fma_f64 v[5:6], v[7:8], 0, v[5:6]
	v_mul_f64 v[17:18], v[17:18], s[4:5]
	v_mul_f64 v[19:20], v[19:20], s[4:5]
	v_add_f64 v[7:8], v[46:47], v[13:14]
	v_add_f64 v[13:14], v[48:49], v[15:16]
	v_mov_b32_e32 v9, 0
	v_fma_f64 v[48:49], v[3:4], 0, -v[23:24]
	v_fma_f64 v[3:4], v[23:24], 0, v[3:4]
	v_fma_f64 v[15:16], v[21:22], s[4:5], -v[17:18]
	v_fma_f64 v[17:18], v[21:22], s[4:5], v[17:18]
	;; [unrolled: 2-line block ×3, first 2 shown]
	s_waitcnt vmcnt(30)
	v_add_f64 v[23:24], v[35:36], v[31:32]
	v_add_f64 v[1:2], v[35:36], -v[31:32]
	s_waitcnt vmcnt(28)
	v_add_f64 v[21:22], v[37:38], v[33:34]
	v_add_f64 v[33:34], v[37:38], -v[33:34]
	v_fma_f64 v[31:32], v[15:16], 0, -v[46:47]
	v_fma_f64 v[15:16], v[46:47], 0, v[15:16]
	v_add_f64 v[35:36], v[23:24], v[25:26]
	v_add_f64 v[23:24], v[23:24], -v[25:26]
	v_add_f64 v[25:26], v[21:22], v[27:28]
	v_add_f64 v[21:22], v[21:22], -v[27:28]
	;; [unrolled: 2-line block ×6, first 2 shown]
	v_add_f64 v[25:26], v[23:24], v[48:49]
	v_add_f64 v[35:36], v[21:22], v[3:4]
	v_add_f64 v[3:4], v[21:22], -v[3:4]
	v_add_f64 v[21:22], v[27:28], v[17:18]
	v_add_f64 v[17:18], v[27:28], -v[17:18]
	;; [unrolled: 2-line block ×4, first 2 shown]
	v_add_f64 v[23:24], v[23:24], -v[48:49]
	v_add_f64 v[37:38], v[5:6], v[15:16]
	v_add_f64 v[5:6], v[5:6], -v[15:16]
	buffer_store_dword v34, off, s[0:3], 0 offset:12
	buffer_store_dword v33, off, s[0:3], 0 offset:8
	;; [unrolled: 1-line block ×19, first 2 shown]
	buffer_store_dword v1, off, s[0:3], 0
	buffer_store_dword v18, off, s[0:3], 0 offset:84
	buffer_store_dword v17, off, s[0:3], 0 offset:80
	;; [unrolled: 1-line block ×12, first 2 shown]
	v_mov_b32_e32 v31, 0x40100000
	v_mov_b32_e32 v32, 0x3ff00000
	;; [unrolled: 1-line block ×3, first 2 shown]
	s_branch .LBB1_2
.LBB1_1:                                ;   in Loop: Header=BB1_2 Depth=1
	s_or_b64 exec, exec, s[4:5]
	v_mul_f64 v[13:14], v[19:20], v[19:20]
	v_mov_b32_e32 v25, s30
	v_mov_b32_e32 v26, s31
	s_mov_b32 s54, s42
	v_cmp_class_f64_e64 vcc, v[7:8], s59
	v_and_b32_e32 v7, 1, v35
	v_cmp_eq_u32_e64 s[4:5], 0, v7
	s_add_i32 s33, s33, 16
	v_mul_f64 v[23:24], v[13:14], 0.5
	v_fma_f64 v[46:47], v[13:14], s[34:35], v[25:26]
	v_mul_f64 v[36:37], v[13:14], v[13:14]
	s_add_u32 s6, s6, 4
	s_addc_u32 s7, s7, 0
	s_cmpk_eq_i32 s33, 0x80
	v_add_f64 v[27:28], -v[23:24], 1.0
	v_fma_f64 v[46:47], v[13:14], v[46:47], s[36:37]
	v_add_f64 v[48:49], -v[27:28], 1.0
	v_fma_f64 v[46:47], v[13:14], v[46:47], s[38:39]
	v_add_f64 v[23:24], v[48:49], -v[23:24]
	v_fma_f64 v[46:47], v[13:14], v[46:47], s[40:41]
	v_mul_f64 v[48:49], v[21:22], 0.5
	v_fma_f64 v[23:24], v[19:20], -v[21:22], v[23:24]
	v_fma_f64 v[46:47], v[13:14], v[46:47], s[42:43]
	v_fma_f64 v[23:24], v[36:37], v[46:47], v[23:24]
	v_mul_f64 v[36:37], v[19:20], -v[13:14]
	v_add_f64 v[27:28], v[27:28], v[23:24]
	v_mov_b32_e32 v23, s44
	v_mov_b32_e32 v24, s45
	v_fma_f64 v[46:47], v[13:14], s[46:47], v[23:24]
	v_fma_f64 v[46:47], v[13:14], v[46:47], s[48:49]
	;; [unrolled: 1-line block ×5, first 2 shown]
	v_fma_f64 v[13:14], v[13:14], v[46:47], -v[21:22]
	v_mul_f64 v[21:22], v[15:16], v[15:16]
	v_fma_f64 v[13:14], v[36:37], s[54:55], v[13:14]
	v_fma_f64 v[25:26], v[21:22], s[34:35], v[25:26]
	;; [unrolled: 1-line block ×3, first 2 shown]
	v_add_f64 v[13:14], v[19:20], -v[13:14]
	v_mul_f64 v[19:20], v[21:22], 0.5
	v_fma_f64 v[25:26], v[21:22], v[25:26], s[36:37]
	v_fma_f64 v[23:24], v[21:22], v[23:24], s[48:49]
	v_xor_b32_e32 v7, 0x80000000, v14
	v_cndmask_b32_e64 v10, v13, v27, s[4:5]
	v_cndmask_b32_e64 v7, v7, v28, s[4:5]
	v_add_f64 v[27:28], -v[19:20], 1.0
	v_lshlrev_b32_e32 v13, 30, v35
	v_fma_f64 v[25:26], v[21:22], v[25:26], s[38:39]
	v_fma_f64 v[23:24], v[21:22], v[23:24], s[50:51]
	v_and_b32_e32 v13, 0x80000000, v13
	v_xor_b32_e32 v7, v7, v13
	v_cndmask_b32_e32 v14, v33, v7, vcc
	v_and_b32_e32 v7, 1, v34
	v_add_f64 v[35:36], -v[27:28], 1.0
	v_cmp_eq_u32_e64 s[4:5], 0, v7
	v_fma_f64 v[25:26], v[21:22], v[25:26], s[40:41]
	v_fma_f64 v[23:24], v[21:22], v[23:24], s[52:53]
	v_cndmask_b32_e32 v13, 0, v10, vcc
	v_add_f64 v[19:20], v[35:36], -v[19:20]
	v_mul_f64 v[35:36], v[21:22], v[21:22]
	v_fma_f64 v[25:26], v[21:22], v[25:26], s[42:43]
	v_fma_f64 v[19:20], v[15:16], -v[17:18], v[19:20]
	v_fma_f64 v[19:20], v[35:36], v[25:26], v[19:20]
	v_mul_f64 v[25:26], v[15:16], -v[21:22]
	v_add_f64 v[19:20], v[27:28], v[19:20]
	v_mul_f64 v[27:28], v[17:18], 0.5
	v_fma_f64 v[23:24], v[25:26], v[23:24], v[27:28]
	v_fma_f64 v[17:18], v[21:22], v[23:24], -v[17:18]
	v_fma_f64 v[17:18], v[25:26], s[54:55], v[17:18]
	v_add_f64 v[15:16], v[15:16], -v[17:18]
	v_cndmask_b32_e64 v7, v19, v15, s[4:5]
	v_lshlrev_b32_e32 v15, 30, v34
	v_xor_b32_e32 v8, v15, v8
	v_cndmask_b32_e64 v10, v20, v16, s[4:5]
	v_and_b32_e32 v8, 0x80000000, v8
	v_xor_b32_e32 v8, v10, v8
	v_cndmask_b32_e32 v7, 0, v7, vcc
	v_cndmask_b32_e32 v8, v33, v8, vcc
	s_waitcnt vmcnt(0)
	v_mul_f64 v[15:16], v[3:4], v[7:8]
	v_fma_f64 v[15:16], v[5:6], v[13:14], -v[15:16]
	v_mul_f64 v[5:6], v[5:6], v[7:8]
	v_fma_f64 v[3:4], v[3:4], v[13:14], v[5:6]
	v_mov_b32_e32 v5, s60
	buffer_store_dword v16, v5, s[0:3], 0 offen offset:4
	buffer_store_dword v15, v5, s[0:3], 0 offen
	buffer_store_dword v4, v5, s[0:3], 0 offen offset:12
	buffer_store_dword v3, v5, s[0:3], 0 offen offset:8
	s_cbranch_scc1 .LBB1_10
.LBB1_2:                                ; =>This Inner Loop Header: Depth=1
	v_mov_b32_e32 v4, s33
	buffer_load_dword v5, v4, s[0:3], 0 offen
	buffer_load_dword v6, v4, s[0:3], 0 offen offset:4
	buffer_load_dword v3, v4, s[0:3], 0 offen offset:8
	s_nop 0
	buffer_load_dword v4, v4, s[0:3], 0 offen offset:12
	s_load_dword s4, s[6:7], 0x0
	s_mov_b32 s60, s33
                                        ; implicit-def: $vgpr35
                                        ; implicit-def: $vgpr19_vgpr20
                                        ; implicit-def: $vgpr21_vgpr22
	s_waitcnt lgkmcnt(0)
	v_cvt_f64_i32_e32 v[7:8], s4
	v_mul_f64 v[7:8], v[7:8], s[8:9]
	v_ldexp_f64 v[7:8], v[7:8], -9
	v_mul_f64 v[7:8], v[7:8], v[11:12]
	v_trig_preop_f64 v[25:26], |v[7:8]|, 0
	v_trig_preop_f64 v[23:24], |v[7:8]|, 1
	;; [unrolled: 1-line block ×3, first 2 shown]
	v_cmp_nlt_f64_e64 s[4:5], |v[7:8]|, s[12:13]
	v_ldexp_f64 v[27:28], |v[7:8]|, s58
	v_and_b32_e32 v36, 0x7fffffff, v8
	s_and_saveexec_b64 s[56:57], s[4:5]
	s_xor_b64 s[56:57], exec, s[56:57]
	s_cbranch_execz .LBB1_4
; %bb.3:                                ;   in Loop: Header=BB1_2 Depth=1
	v_cmp_ge_f64_e64 vcc, |v[7:8]|, s[14:15]
	s_mov_b32 s18, s10
	s_mov_b32 s23, s21
	v_cndmask_b32_e32 v16, v36, v28, vcc
	v_cndmask_b32_e32 v15, v7, v27, vcc
	v_mul_f64 v[17:18], v[25:26], v[15:16]
	v_mul_f64 v[19:20], v[23:24], v[15:16]
	;; [unrolled: 1-line block ×3, first 2 shown]
	v_fma_f64 v[21:22], v[25:26], v[15:16], -v[17:18]
	v_fma_f64 v[50:51], v[23:24], v[15:16], -v[19:20]
	;; [unrolled: 1-line block ×3, first 2 shown]
	v_add_f64 v[34:35], v[19:20], v[21:22]
	v_add_f64 v[37:38], v[34:35], -v[19:20]
	v_add_f64 v[52:53], v[17:18], v[34:35]
	v_add_f64 v[46:47], v[34:35], -v[37:38]
	v_add_f64 v[21:22], v[21:22], -v[37:38]
	v_add_f64 v[37:38], v[48:49], v[50:51]
	v_add_f64 v[17:18], v[52:53], -v[17:18]
	v_add_f64 v[19:20], v[19:20], -v[46:47]
	v_ldexp_f64 v[46:47], v[52:53], -2
	v_add_f64 v[54:55], v[37:38], -v[48:49]
	v_add_f64 v[17:18], v[34:35], -v[17:18]
	v_add_f64 v[19:20], v[21:22], v[19:20]
	v_fract_f64_e32 v[21:22], v[46:47]
	v_cmp_neq_f64_e64 vcc, |v[46:47]|, s[16:17]
	v_add_f64 v[50:51], v[50:51], -v[54:55]
	v_add_f64 v[34:35], v[37:38], v[19:20]
	v_ldexp_f64 v[21:22], v[21:22], 2
	v_add_f64 v[46:47], v[17:18], v[34:35]
	v_cndmask_b32_e32 v22, 0, v22, vcc
	v_cndmask_b32_e32 v21, 0, v21, vcc
	v_add_f64 v[56:57], v[34:35], -v[37:38]
	v_add_f64 v[52:53], v[46:47], v[21:22]
	v_add_f64 v[17:18], v[46:47], -v[17:18]
	v_add_f64 v[58:59], v[34:35], -v[56:57]
	;; [unrolled: 1-line block ×3, first 2 shown]
	v_cmp_gt_f64_e32 vcc, 0, v[52:53]
	v_add_f64 v[52:53], v[37:38], -v[54:55]
	v_add_f64 v[17:18], v[34:35], -v[17:18]
	;; [unrolled: 1-line block ×3, first 2 shown]
	v_cndmask_b32_e32 v10, 0, v31, vcc
	v_add_f64 v[21:22], v[21:22], v[9:10]
	v_add_f64 v[52:53], v[48:49], -v[52:53]
	v_add_f64 v[19:20], v[19:20], v[37:38]
	v_add_f64 v[60:61], v[46:47], v[21:22]
	;; [unrolled: 1-line block ×3, first 2 shown]
	v_cvt_i32_f64_e32 v56, v[60:61]
	v_add_f64 v[19:20], v[50:51], v[19:20]
	v_cvt_f64_i32_e32 v[54:55], v56
	v_add_f64 v[21:22], v[21:22], -v[54:55]
	v_add_f64 v[15:16], v[15:16], v[19:20]
	v_add_f64 v[37:38], v[46:47], v[21:22]
	;; [unrolled: 1-line block ×3, first 2 shown]
	v_add_f64 v[19:20], v[37:38], -v[21:22]
	v_cmp_le_f64_e32 vcc, 0.5, v[37:38]
	v_add_f64 v[17:18], v[46:47], -v[19:20]
	v_cndmask_b32_e32 v10, 0, v32, vcc
	v_add_f64 v[15:16], v[15:16], v[17:18]
	v_add_f64 v[17:18], v[37:38], -v[9:10]
	v_add_f64 v[19:20], v[17:18], v[15:16]
	v_mul_f64 v[21:22], v[19:20], s[18:19]
	v_add_f64 v[17:18], v[19:20], -v[17:18]
	v_fma_f64 v[34:35], v[19:20], s[18:19], -v[21:22]
	v_add_f64 v[15:16], v[15:16], -v[17:18]
	v_fma_f64 v[17:18], v[19:20], s[22:23], v[34:35]
	v_addc_co_u32_e32 v35, vcc, 0, v56, vcc
	v_fma_f64 v[15:16], v[15:16], s[18:19], v[17:18]
	v_add_f64 v[19:20], v[21:22], v[15:16]
	v_add_f64 v[17:18], v[19:20], -v[21:22]
	v_add_f64 v[21:22], v[15:16], -v[17:18]
	s_andn2_saveexec_b64 s[56:57], s[56:57]
	s_cbranch_execz .LBB1_6
	s_branch .LBB1_5
.LBB1_4:                                ;   in Loop: Header=BB1_2 Depth=1
	s_andn2_saveexec_b64 s[56:57], s[56:57]
	s_cbranch_execz .LBB1_6
.LBB1_5:                                ;   in Loop: Header=BB1_2 Depth=1
	v_mul_f64 v[15:16], |v[7:8]|, s[24:25]
	s_mov_b32 s20, s26
	v_rndne_f64_e32 v[15:16], v[15:16]
	v_fma_f64 v[17:18], v[15:16], s[10:11], |v[7:8]|
	v_mul_f64 v[19:20], v[15:16], s[26:27]
	v_add_f64 v[21:22], v[17:18], v[19:20]
	v_add_f64 v[34:35], v[17:18], -v[21:22]
	v_fma_f64 v[17:18], v[15:16], s[26:27], v[17:18]
	v_add_f64 v[34:35], v[34:35], v[19:20]
	v_add_f64 v[21:22], v[21:22], -v[17:18]
	v_fma_f64 v[19:20], v[15:16], s[20:21], v[19:20]
	v_add_f64 v[21:22], v[21:22], v[34:35]
	v_cvt_i32_f64_e32 v35, v[15:16]
	v_add_f64 v[19:20], v[21:22], -v[19:20]
	v_fma_f64 v[21:22], v[15:16], s[28:29], v[19:20]
	v_add_f64 v[19:20], v[17:18], v[21:22]
	v_add_f64 v[17:18], v[19:20], -v[17:18]
	v_add_f64 v[21:22], v[21:22], -v[17:18]
.LBB1_6:                                ;   in Loop: Header=BB1_2 Depth=1
	s_or_b64 exec, exec, s[56:57]
                                        ; implicit-def: $vgpr34
                                        ; implicit-def: $vgpr15_vgpr16
                                        ; implicit-def: $vgpr17_vgpr18
	s_and_saveexec_b64 s[56:57], s[4:5]
	s_xor_b64 s[56:57], exec, s[56:57]
	s_cbranch_execz .LBB1_8
; %bb.7:                                ;   in Loop: Header=BB1_2 Depth=1
	v_cmp_ge_f64_e64 vcc, |v[7:8]|, s[14:15]
	s_mov_b32 s18, s10
	s_mov_b32 s23, s21
	v_cndmask_b32_e32 v16, v36, v28, vcc
	v_cndmask_b32_e32 v15, v7, v27, vcc
	v_mul_f64 v[17:18], v[25:26], v[15:16]
	v_mul_f64 v[27:28], v[23:24], v[15:16]
	;; [unrolled: 1-line block ×3, first 2 shown]
	v_fma_f64 v[25:26], v[25:26], v[15:16], -v[17:18]
	v_fma_f64 v[23:24], v[23:24], v[15:16], -v[27:28]
	;; [unrolled: 1-line block ×3, first 2 shown]
	v_add_f64 v[36:37], v[27:28], v[25:26]
	v_add_f64 v[46:47], v[36:37], -v[27:28]
	v_add_f64 v[52:53], v[17:18], v[36:37]
	v_add_f64 v[48:49], v[36:37], -v[46:47]
	v_add_f64 v[25:26], v[25:26], -v[46:47]
	v_add_f64 v[46:47], v[50:51], v[23:24]
	v_add_f64 v[17:18], v[52:53], -v[17:18]
	v_add_f64 v[27:28], v[27:28], -v[48:49]
	v_ldexp_f64 v[48:49], v[52:53], -2
	v_add_f64 v[54:55], v[46:47], -v[50:51]
	v_add_f64 v[17:18], v[36:37], -v[17:18]
	v_add_f64 v[25:26], v[25:26], v[27:28]
	v_fract_f64_e32 v[27:28], v[48:49]
	v_cmp_neq_f64_e64 vcc, |v[48:49]|, s[16:17]
	v_add_f64 v[23:24], v[23:24], -v[54:55]
	v_add_f64 v[36:37], v[46:47], v[25:26]
	v_ldexp_f64 v[27:28], v[27:28], 2
	v_add_f64 v[48:49], v[17:18], v[36:37]
	v_cndmask_b32_e32 v28, 0, v28, vcc
	v_cndmask_b32_e32 v27, 0, v27, vcc
	v_add_f64 v[56:57], v[36:37], -v[46:47]
	v_add_f64 v[52:53], v[48:49], v[27:28]
	v_add_f64 v[15:16], v[48:49], -v[17:18]
	v_add_f64 v[58:59], v[36:37], -v[56:57]
	;; [unrolled: 1-line block ×3, first 2 shown]
	v_cmp_gt_f64_e32 vcc, 0, v[52:53]
	v_add_f64 v[52:53], v[46:47], -v[54:55]
	v_add_f64 v[15:16], v[36:37], -v[15:16]
	;; [unrolled: 1-line block ×3, first 2 shown]
	v_cndmask_b32_e32 v10, 0, v31, vcc
	v_add_f64 v[27:28], v[27:28], v[9:10]
	v_add_f64 v[52:53], v[50:51], -v[52:53]
	v_add_f64 v[25:26], v[25:26], v[46:47]
	v_add_f64 v[60:61], v[48:49], v[27:28]
	v_add_f64 v[23:24], v[23:24], v[52:53]
	v_cvt_i32_f64_e32 v10, v[60:61]
	v_add_f64 v[17:18], v[23:24], v[25:26]
	v_cvt_f64_i32_e32 v[54:55], v10
	v_add_f64 v[27:28], v[27:28], -v[54:55]
	v_add_f64 v[13:14], v[13:14], v[17:18]
	v_add_f64 v[23:24], v[48:49], v[27:28]
	v_add_f64 v[13:14], v[15:16], v[13:14]
	v_add_f64 v[17:18], v[23:24], -v[27:28]
	v_cmp_le_f64_e32 vcc, 0.5, v[23:24]
	v_add_f64 v[15:16], v[48:49], -v[17:18]
	v_addc_co_u32_e64 v34, s[4:5], 0, v10, vcc
	v_cndmask_b32_e32 v10, 0, v32, vcc
	v_add_f64 v[13:14], v[13:14], v[15:16]
	v_add_f64 v[15:16], v[23:24], -v[9:10]
	v_add_f64 v[17:18], v[15:16], v[13:14]
	v_mul_f64 v[23:24], v[17:18], s[18:19]
	v_add_f64 v[15:16], v[17:18], -v[15:16]
	v_fma_f64 v[25:26], v[17:18], s[18:19], -v[23:24]
	v_add_f64 v[13:14], v[13:14], -v[15:16]
	v_fma_f64 v[15:16], v[17:18], s[22:23], v[25:26]
	v_fma_f64 v[13:14], v[13:14], s[18:19], v[15:16]
	v_add_f64 v[15:16], v[23:24], v[13:14]
	v_add_f64 v[17:18], v[15:16], -v[23:24]
	v_add_f64 v[17:18], v[13:14], -v[17:18]
	s_andn2_saveexec_b64 s[4:5], s[56:57]
	s_cbranch_execz .LBB1_1
	s_branch .LBB1_9
.LBB1_8:                                ;   in Loop: Header=BB1_2 Depth=1
	s_andn2_saveexec_b64 s[4:5], s[56:57]
	s_cbranch_execz .LBB1_1
.LBB1_9:                                ;   in Loop: Header=BB1_2 Depth=1
	v_mul_f64 v[13:14], |v[7:8]|, s[24:25]
	s_mov_b32 s20, s26
	v_rndne_f64_e32 v[13:14], v[13:14]
	v_fma_f64 v[15:16], v[13:14], s[10:11], |v[7:8]|
	v_mul_f64 v[17:18], v[13:14], s[26:27]
	v_cvt_i32_f64_e32 v34, v[13:14]
	v_fma_f64 v[27:28], v[13:14], s[26:27], v[15:16]
	v_add_f64 v[23:24], v[15:16], v[17:18]
	v_add_f64 v[25:26], v[15:16], -v[23:24]
	v_add_f64 v[23:24], v[23:24], -v[27:28]
	v_add_f64 v[15:16], v[25:26], v[17:18]
	v_fma_f64 v[17:18], v[13:14], s[20:21], v[17:18]
	v_add_f64 v[15:16], v[23:24], v[15:16]
	v_add_f64 v[15:16], v[15:16], -v[17:18]
	v_fma_f64 v[17:18], v[13:14], s[28:29], v[15:16]
	v_add_f64 v[15:16], v[27:28], v[17:18]
	v_add_f64 v[23:24], v[15:16], -v[27:28]
	v_add_f64 v[17:18], v[17:18], -v[23:24]
	s_branch .LBB1_1
.LBB1_10:
	buffer_load_dword v4, off, s[0:3], 0 offset:100
	buffer_load_dword v5, off, s[0:3], 0 offset:112
	;; [unrolled: 1-line block ×14, first 2 shown]
	v_and_b32_e32 v46, 7, v0
	v_and_b32_e32 v17, 0x3f8, v0
	s_movk_i32 s4, 0x210
	v_lshlrev_b32_e32 v28, 3, v0
	v_mad_u32_u24 v17, v46, s4, v17
	v_add_u32_e32 v18, 0x800, v28
	s_mov_b32 s4, 0x667f3bcd
	s_mov_b32 s5, 0x3fe6a09e
	v_lshrrev_b32_e32 v47, 3, v0
	s_mov_b32 s8, 0x54442d18
	s_mov_b32 s10, 0x54442d18
	;; [unrolled: 1-line block ×24, first 2 shown]
	s_movk_i32 s60, 0xff80
	s_mov_b32 s17, 0x7ff00000
	v_mov_b32_e32 v0, 0
	s_mov_b32 s19, 0x3ff921fb
	s_mov_b32 s21, 0x3c91a626
	;; [unrolled: 1-line block ×6, first 2 shown]
	s_movk_i32 s61, 0x1f8
	s_mov_b32 s31, 0x3e21eeb6
	s_mov_b32 s35, 0xbda907db
	;; [unrolled: 1-line block ×12, first 2 shown]
	v_mov_b32_e32 v48, 0x40100000
	v_mov_b32_e32 v49, 0x3ff00000
	s_getpc_b64 s[6:7]
	s_add_u32 s6, s6, __const._Z10ifft1D_512P15HIP_vector_typeIdLj2EE.reversed@rel32@lo+8
	s_addc_u32 s7, s7, __const._Z10ifft1D_512P15HIP_vector_typeIdLj2EE.reversed@rel32@hi+16
	s_waitcnt vmcnt(3)
	ds_write2_b64 v28, v[1:2], v[13:14] offset1:66
	s_waitcnt vmcnt(2)
	ds_write2_b64 v28, v[11:12], v[3:4] offset0:132 offset1:198
	ds_write2_b64 v18, v[9:10], v[7:8] offset0:8 offset1:74
	s_waitcnt vmcnt(0)
	ds_write2_b64 v18, v[15:16], v[5:6] offset0:140 offset1:206
	s_waitcnt lgkmcnt(0)
	s_barrier
	ds_read2_b64 v[1:4], v17 offset1:8
	ds_read2_b64 v[5:8], v17 offset0:16 offset1:24
	ds_read2_b64 v[9:12], v17 offset0:32 offset1:40
	ds_read2_b64 v[13:16], v17 offset0:48 offset1:56
	s_waitcnt lgkmcnt(3)
	buffer_store_dword v2, off, s[0:3], 0 offset:4
	buffer_store_dword v1, off, s[0:3], 0
	buffer_store_dword v4, off, s[0:3], 0 offset:20
	buffer_store_dword v3, off, s[0:3], 0 offset:16
	s_waitcnt lgkmcnt(2)
	buffer_store_dword v6, off, s[0:3], 0 offset:36
	buffer_store_dword v5, off, s[0:3], 0 offset:32
	buffer_store_dword v8, off, s[0:3], 0 offset:52
	buffer_store_dword v7, off, s[0:3], 0 offset:48
	s_waitcnt lgkmcnt(1)
	buffer_store_dword v10, off, s[0:3], 0 offset:68
	buffer_store_dword v9, off, s[0:3], 0 offset:64
	;; [unrolled: 5-line block ×3, first 2 shown]
	buffer_store_dword v16, off, s[0:3], 0 offset:116
	buffer_store_dword v15, off, s[0:3], 0 offset:112
	s_waitcnt vmcnt(0)
	s_barrier
	buffer_load_dword v2, off, s[0:3], 0 offset:76
	buffer_load_dword v4, off, s[0:3], 0 offset:108
	;; [unrolled: 1-line block ×16, first 2 shown]
	s_waitcnt vmcnt(6)
	ds_write2_b64 v28, v[9:10], v[1:2] offset1:66
	s_waitcnt vmcnt(2)
	ds_write2_b64 v28, v[13:14], v[3:4] offset0:132 offset1:198
	ds_write2_b64 v18, v[11:12], v[7:8] offset0:8 offset1:74
	s_waitcnt vmcnt(0)
	ds_write2_b64 v18, v[15:16], v[5:6] offset0:140 offset1:206
	s_waitcnt lgkmcnt(0)
	s_barrier
	ds_read2_b64 v[1:4], v17 offset1:8
	ds_read2_b64 v[5:8], v17 offset0:16 offset1:24
	ds_read2_b64 v[9:12], v17 offset0:32 offset1:40
	;; [unrolled: 1-line block ×3, first 2 shown]
	s_waitcnt lgkmcnt(3)
	buffer_store_dword v2, off, s[0:3], 0 offset:12
	buffer_store_dword v1, off, s[0:3], 0 offset:8
	buffer_store_dword v4, off, s[0:3], 0 offset:28
	buffer_store_dword v3, off, s[0:3], 0 offset:24
	s_waitcnt lgkmcnt(2)
	buffer_store_dword v6, off, s[0:3], 0 offset:44
	buffer_store_dword v5, off, s[0:3], 0 offset:40
	buffer_store_dword v8, off, s[0:3], 0 offset:60
	buffer_store_dword v7, off, s[0:3], 0 offset:56
	s_waitcnt lgkmcnt(1)
	buffer_store_dword v10, off, s[0:3], 0 offset:76
	buffer_store_dword v9, off, s[0:3], 0 offset:72
	buffer_store_dword v12, off, s[0:3], 0 offset:92
	buffer_store_dword v11, off, s[0:3], 0 offset:88
	s_waitcnt lgkmcnt(0)
	buffer_store_dword v14, off, s[0:3], 0 offset:108
	buffer_store_dword v13, off, s[0:3], 0 offset:104
	buffer_store_dword v16, off, s[0:3], 0 offset:124
	buffer_store_dword v15, off, s[0:3], 0 offset:120
	s_waitcnt vmcnt(0)
	s_barrier
	buffer_load_dword v2, off, s[0:3], 0 offset:68
	buffer_load_dword v7, off, s[0:3], 0 offset:76
	;; [unrolled: 1-line block ×8, first 2 shown]
	buffer_load_dword v14, off, s[0:3], 0
	buffer_load_dword v15, off, s[0:3], 0 offset:4
	buffer_load_dword v18, off, s[0:3], 0 offset:8
	;; [unrolled: 1-line block ×23, first 2 shown]
	v_cvt_f64_u32_e32 v[4:5], v47
	s_waitcnt vmcnt(22)
	v_add_f64 v[50:51], v[14:15], v[1:2]
	v_add_f64 v[14:15], v[14:15], -v[1:2]
	s_waitcnt vmcnt(20)
	v_add_f64 v[52:53], v[18:19], v[6:7]
	v_add_f64 v[6:7], v[18:19], -v[6:7]
	;; [unrolled: 3-line block ×5, first 2 shown]
	s_waitcnt vmcnt(4)
	v_add_f64 v[20:21], v[31:32], -v[24:25]
	v_add_f64 v[24:25], v[31:32], v[24:25]
	s_waitcnt vmcnt(2)
	v_add_f64 v[35:36], v[33:34], -v[26:27]
	v_add_f64 v[26:27], v[33:34], v[26:27]
	;; [unrolled: 3-line block ×3, first 2 shown]
	v_add_f64 v[31:32], v[8:9], -v[10:11]
	v_add_f64 v[8:9], v[8:9], v[10:11]
	v_fma_f64 v[10:11], v[16:17], 0, -v[20:21]
	v_fma_f64 v[16:17], v[20:21], 0, v[16:17]
	v_add_f64 v[56:57], v[50:51], v[12:13]
	v_add_f64 v[33:34], v[1:2], -v[26:27]
	v_add_f64 v[20:21], -v[35:36], -v[54:55]
	v_add_f64 v[37:38], v[18:19], -v[22:23]
	v_add_f64 v[18:19], v[18:19], v[22:23]
	v_add_f64 v[22:23], v[52:53], v[24:25]
	v_add_f64 v[35:36], v[35:36], -v[54:55]
	v_add_f64 v[26:27], v[1:2], v[26:27]
	v_add_f64 v[12:13], v[50:51], -v[12:13]
	v_add_f64 v[24:25], v[52:53], -v[24:25]
	v_fma_f64 v[50:51], v[33:34], 0, -v[37:38]
	v_fma_f64 v[33:34], v[37:38], 0, v[33:34]
	v_add_f64 v[37:38], v[22:23], v[18:19]
	v_add_f64 v[18:19], v[22:23], -v[18:19]
	v_add_f64 v[22:23], v[14:15], v[10:11]
	v_add_f64 v[10:11], v[14:15], -v[10:11]
	v_add_f64 v[14:15], v[6:7], v[16:17]
	v_add_f64 v[6:7], v[6:7], -v[16:17]
	v_mul_f64 v[16:17], v[20:21], s[4:5]
	v_mul_f64 v[20:21], v[35:36], s[4:5]
	v_add_f64 v[2:3], v[56:57], v[26:27]
	v_add_f64 v[26:27], v[56:57], -v[26:27]
	buffer_store_dword v37, off, s[0:3], 0 offset:8
	buffer_store_dword v38, off, s[0:3], 0 offset:12
	;; [unrolled: 1-line block ×6, first 2 shown]
	v_add_f64 v[26:27], v[24:25], v[33:34]
	v_add_f64 v[24:25], v[24:25], -v[33:34]
	v_fma_f64 v[33:34], v[31:32], s[4:5], v[16:17]
	v_fma_f64 v[16:17], v[31:32], s[4:5], -v[16:17]
	v_fma_f64 v[31:32], v[8:9], s[4:5], v[20:21]
	v_fma_f64 v[8:9], v[8:9], s[4:5], -v[20:21]
	v_add_f64 v[18:19], v[12:13], v[50:51]
	v_add_f64 v[12:13], v[12:13], -v[50:51]
	buffer_store_dword v2, off, s[0:3], 0
	buffer_store_dword v3, off, s[0:3], 0 offset:4
	buffer_store_dword v18, off, s[0:3], 0 offset:32
	;; [unrolled: 1-line block ×7, first 2 shown]
	v_add_f64 v[12:13], v[22:23], v[33:34]
	v_fma_f64 v[20:21], v[16:17], 0, -v[8:9]
	v_add_f64 v[18:19], v[14:15], v[31:32]
	v_fma_f64 v[8:9], v[8:9], 0, v[16:17]
	v_add_f64 v[22:23], v[22:23], -v[33:34]
	v_add_f64 v[14:15], v[14:15], -v[31:32]
	buffer_store_dword v24, off, s[0:3], 0 offset:56
	buffer_store_dword v25, off, s[0:3], 0 offset:60
	;; [unrolled: 1-line block ×6, first 2 shown]
	v_add_f64 v[12:13], v[10:11], v[20:21]
	v_add_f64 v[10:11], v[10:11], -v[20:21]
	v_add_f64 v[16:17], v[6:7], v[8:9]
	v_add_f64 v[6:7], v[6:7], -v[8:9]
	v_mov_b32_e32 v31, 0x7ff80000
	buffer_store_dword v22, off, s[0:3], 0 offset:80
	buffer_store_dword v23, off, s[0:3], 0 offset:84
	;; [unrolled: 1-line block ×12, first 2 shown]
	s_branch .LBB1_12
.LBB1_11:                               ;   in Loop: Header=BB1_12 Depth=1
	s_or_b64 exec, exec, s[4:5]
	v_mul_f64 v[12:13], v[24:25], v[24:25]
	v_mov_b32_e32 v20, s30
	v_mov_b32_e32 v21, s31
	s_mov_b32 s54, s42
	v_and_b32_e32 v1, 1, v34
	v_cmp_eq_u32_e64 s[4:5], 0, v1
	v_cmp_class_f64_e64 vcc, v[10:11], s61
	s_add_i32 s33, s33, 16
	v_mul_f64 v[18:19], v[12:13], 0.5
	v_fma_f64 v[37:38], v[12:13], s[34:35], v[20:21]
	v_mul_f64 v[35:36], v[12:13], v[12:13]
	s_add_u32 s6, s6, 4
	s_addc_u32 s7, s7, 0
	s_cmpk_eq_i32 s33, 0x80
	v_add_f64 v[22:23], -v[18:19], 1.0
	v_fma_f64 v[37:38], v[12:13], v[37:38], s[36:37]
	v_add_f64 v[50:51], -v[22:23], 1.0
	v_fma_f64 v[37:38], v[12:13], v[37:38], s[38:39]
	v_add_f64 v[18:19], v[50:51], -v[18:19]
	v_fma_f64 v[37:38], v[12:13], v[37:38], s[40:41]
	v_mul_f64 v[50:51], v[26:27], 0.5
	v_fma_f64 v[18:19], v[24:25], -v[26:27], v[18:19]
	v_fma_f64 v[37:38], v[12:13], v[37:38], s[42:43]
	v_fma_f64 v[18:19], v[35:36], v[37:38], v[18:19]
	v_mul_f64 v[35:36], v[24:25], -v[12:13]
	v_add_f64 v[22:23], v[22:23], v[18:19]
	v_mov_b32_e32 v18, s44
	v_mov_b32_e32 v19, s45
	v_fma_f64 v[37:38], v[12:13], s[46:47], v[18:19]
	v_fma_f64 v[37:38], v[12:13], v[37:38], s[48:49]
	;; [unrolled: 1-line block ×5, first 2 shown]
	v_fma_f64 v[12:13], v[12:13], v[37:38], -v[26:27]
	v_fma_f64 v[12:13], v[35:36], s[54:55], v[12:13]
	v_add_f64 v[12:13], v[24:25], -v[12:13]
	v_xor_b32_e32 v1, 0x80000000, v13
	v_cndmask_b32_e64 v10, v12, v22, s[4:5]
	v_cndmask_b32_e64 v1, v1, v23, s[4:5]
	v_mul_f64 v[22:23], v[14:15], v[14:15]
	v_lshlrev_b32_e32 v12, 30, v34
	v_and_b32_e32 v12, 0x80000000, v12
	v_xor_b32_e32 v1, v1, v12
	v_cndmask_b32_e32 v13, v31, v1, vcc
	v_and_b32_e32 v1, 1, v32
	v_cmp_eq_u32_e64 s[4:5], 0, v1
	v_cndmask_b32_e32 v12, 0, v10, vcc
	v_mul_f64 v[24:25], v[22:23], 0.5
	v_fma_f64 v[20:21], v[22:23], s[34:35], v[20:21]
	v_fma_f64 v[18:19], v[22:23], s[46:47], v[18:19]
	v_add_f64 v[26:27], -v[24:25], 1.0
	v_fma_f64 v[20:21], v[22:23], v[20:21], s[36:37]
	v_fma_f64 v[18:19], v[22:23], v[18:19], s[48:49]
	v_add_f64 v[33:34], -v[26:27], 1.0
	v_fma_f64 v[20:21], v[22:23], v[20:21], s[38:39]
	v_fma_f64 v[18:19], v[22:23], v[18:19], s[50:51]
	v_add_f64 v[24:25], v[33:34], -v[24:25]
	v_fma_f64 v[20:21], v[22:23], v[20:21], s[40:41]
	v_mul_f64 v[33:34], v[22:23], v[22:23]
	v_fma_f64 v[18:19], v[22:23], v[18:19], s[52:53]
	v_fma_f64 v[24:25], v[14:15], -v[16:17], v[24:25]
	v_fma_f64 v[20:21], v[22:23], v[20:21], s[42:43]
	v_fma_f64 v[20:21], v[33:34], v[20:21], v[24:25]
	v_mul_f64 v[24:25], v[14:15], -v[22:23]
	v_add_f64 v[20:21], v[26:27], v[20:21]
	v_mul_f64 v[26:27], v[16:17], 0.5
	v_fma_f64 v[18:19], v[24:25], v[18:19], v[26:27]
	v_fma_f64 v[16:17], v[22:23], v[18:19], -v[16:17]
	v_fma_f64 v[16:17], v[24:25], s[54:55], v[16:17]
	v_add_f64 v[14:15], v[14:15], -v[16:17]
	v_cndmask_b32_e64 v1, v20, v14, s[4:5]
	v_lshlrev_b32_e32 v14, 30, v32
	v_xor_b32_e32 v11, v14, v11
	v_cndmask_b32_e64 v10, v21, v15, s[4:5]
	v_and_b32_e32 v11, 0x80000000, v11
	v_xor_b32_e32 v11, v10, v11
	v_cndmask_b32_e32 v10, 0, v1, vcc
	v_cndmask_b32_e32 v11, v31, v11, vcc
	s_waitcnt vmcnt(0)
	v_mul_f64 v[14:15], v[6:7], v[10:11]
	v_mov_b32_e32 v1, s62
	v_fma_f64 v[14:15], v[8:9], v[12:13], -v[14:15]
	v_mul_f64 v[8:9], v[8:9], v[10:11]
	v_fma_f64 v[6:7], v[6:7], v[12:13], v[8:9]
	buffer_store_dword v15, v1, s[0:3], 0 offen offset:4
	buffer_store_dword v14, v1, s[0:3], 0 offen
	buffer_store_dword v7, v1, s[0:3], 0 offen offset:12
	buffer_store_dword v6, v1, s[0:3], 0 offen offset:8
	s_cbranch_scc1 .LBB1_20
.LBB1_12:                               ; =>This Inner Loop Header: Depth=1
	v_mov_b32_e32 v1, s33
	buffer_load_dword v8, v1, s[0:3], 0 offen
	buffer_load_dword v9, v1, s[0:3], 0 offen offset:4
	buffer_load_dword v6, v1, s[0:3], 0 offen offset:8
	;; [unrolled: 1-line block ×3, first 2 shown]
	s_load_dword s4, s[6:7], 0x0
	s_mov_b32 s62, s33
                                        ; implicit-def: $vgpr34
                                        ; implicit-def: $vgpr24_vgpr25
                                        ; implicit-def: $vgpr26_vgpr27
	s_waitcnt lgkmcnt(0)
	v_cvt_f64_i32_e32 v[10:11], s4
	v_mul_f64 v[10:11], v[10:11], s[8:9]
	v_ldexp_f64 v[10:11], v[10:11], -6
	v_mul_f64 v[10:11], v[10:11], v[4:5]
	v_trig_preop_f64 v[20:21], |v[10:11]|, 0
	v_trig_preop_f64 v[18:19], |v[10:11]|, 1
	;; [unrolled: 1-line block ×3, first 2 shown]
	v_cmp_nlt_f64_e64 s[56:57], |v[10:11]|, s[12:13]
	v_ldexp_f64 v[22:23], |v[10:11]|, s60
	v_and_b32_e32 v33, 0x7fffffff, v11
	s_and_saveexec_b64 s[4:5], s[56:57]
	s_xor_b64 s[58:59], exec, s[4:5]
	s_cbranch_execz .LBB1_14
; %bb.13:                               ;   in Loop: Header=BB1_12 Depth=1
	v_cmp_ge_f64_e64 vcc, |v[10:11]|, s[14:15]
	s_mov_b32 s18, s10
	s_mov_b32 s23, s21
	v_cndmask_b32_e32 v25, v33, v23, vcc
	v_cndmask_b32_e32 v24, v10, v22, vcc
	v_mul_f64 v[26:27], v[20:21], v[24:25]
	v_mul_f64 v[14:15], v[18:19], v[24:25]
	v_mul_f64 v[56:57], v[12:13], v[24:25]
	v_fma_f64 v[34:35], v[20:21], v[24:25], -v[26:27]
	v_add_f64 v[36:37], v[14:15], v[34:35]
	v_add_f64 v[54:55], v[36:37], -v[14:15]
	v_add_f64 v[50:51], v[26:27], v[36:37]
	v_add_f64 v[34:35], v[34:35], -v[54:55]
	v_add_f64 v[54:55], v[36:37], -v[54:55]
	v_ldexp_f64 v[16:17], v[50:51], -2
	v_add_f64 v[54:55], v[14:15], -v[54:55]
	v_fract_f64_e32 v[52:53], v[16:17]
	v_cmp_neq_f64_e64 vcc, |v[16:17]|, s[16:17]
	v_add_f64 v[34:35], v[34:35], v[54:55]
	v_fma_f64 v[54:55], v[18:19], v[24:25], -v[14:15]
	v_add_f64 v[14:15], v[50:51], -v[26:27]
	v_fma_f64 v[24:25], v[12:13], v[24:25], -v[56:57]
	v_add_f64 v[58:59], v[56:57], v[54:55]
	v_add_f64 v[26:27], v[36:37], -v[14:15]
	v_add_f64 v[60:61], v[58:59], v[34:35]
	v_add_f64 v[36:37], v[60:61], -v[58:59]
	;; [unrolled: 2-line block ×3, first 2 shown]
	v_add_f64 v[36:37], v[60:61], -v[36:37]
	v_add_f64 v[26:27], v[14:15], -v[26:27]
	;; [unrolled: 1-line block ×4, first 2 shown]
	v_add_f64 v[34:35], v[34:35], v[36:37]
	v_add_f64 v[36:37], v[58:59], -v[56:57]
	v_add_f64 v[50:51], v[54:55], -v[36:37]
	;; [unrolled: 1-line block ×4, first 2 shown]
	v_add_f64 v[36:37], v[50:51], v[36:37]
	v_add_f64 v[34:35], v[36:37], v[34:35]
	;; [unrolled: 1-line block ×4, first 2 shown]
	v_ldexp_f64 v[26:27], v[52:53], 2
	v_cndmask_b32_e32 v17, 0, v27, vcc
	v_cndmask_b32_e32 v16, 0, v26, vcc
	v_add_f64 v[26:27], v[14:15], v[16:17]
	v_cmp_gt_f64_e32 vcc, 0, v[26:27]
	v_cndmask_b32_e32 v1, 0, v48, vcc
	v_add_f64 v[16:17], v[16:17], v[0:1]
	v_add_f64 v[26:27], v[14:15], v[16:17]
	v_cvt_i32_f64_e32 v1, v[26:27]
	v_cvt_f64_i32_e32 v[26:27], v1
	v_add_f64 v[16:17], v[16:17], -v[26:27]
	v_add_f64 v[26:27], v[14:15], v[16:17]
	v_add_f64 v[16:17], v[26:27], -v[16:17]
	v_cmp_le_f64_e32 vcc, 0.5, v[26:27]
	v_add_f64 v[14:15], v[14:15], -v[16:17]
	v_addc_co_u32_e64 v34, s[4:5], 0, v1, vcc
	v_cndmask_b32_e32 v1, 0, v49, vcc
	v_add_f64 v[16:17], v[26:27], -v[0:1]
	v_add_f64 v[14:15], v[24:25], v[14:15]
	v_add_f64 v[24:25], v[16:17], v[14:15]
	v_add_f64 v[16:17], v[24:25], -v[16:17]
	v_add_f64 v[14:15], v[14:15], -v[16:17]
	v_mul_f64 v[16:17], v[24:25], s[18:19]
	v_fma_f64 v[26:27], v[24:25], s[18:19], -v[16:17]
	v_fma_f64 v[24:25], v[24:25], s[22:23], v[26:27]
	v_fma_f64 v[14:15], v[14:15], s[18:19], v[24:25]
	v_add_f64 v[24:25], v[16:17], v[14:15]
	v_add_f64 v[16:17], v[24:25], -v[16:17]
	v_add_f64 v[26:27], v[14:15], -v[16:17]
	s_andn2_saveexec_b64 s[4:5], s[58:59]
	s_cbranch_execz .LBB1_16
	s_branch .LBB1_15
.LBB1_14:                               ;   in Loop: Header=BB1_12 Depth=1
	s_andn2_saveexec_b64 s[4:5], s[58:59]
	s_cbranch_execz .LBB1_16
.LBB1_15:                               ;   in Loop: Header=BB1_12 Depth=1
	v_mul_f64 v[14:15], |v[10:11]|, s[24:25]
	s_mov_b32 s20, s26
	v_rndne_f64_e32 v[14:15], v[14:15]
	v_fma_f64 v[16:17], v[14:15], s[10:11], |v[10:11]|
	v_mul_f64 v[24:25], v[14:15], s[26:27]
	v_add_f64 v[26:27], v[16:17], v[24:25]
	v_add_f64 v[34:35], v[16:17], -v[26:27]
	v_fma_f64 v[16:17], v[14:15], s[26:27], v[16:17]
	v_add_f64 v[34:35], v[34:35], v[24:25]
	v_add_f64 v[26:27], v[26:27], -v[16:17]
	v_fma_f64 v[24:25], v[14:15], s[20:21], v[24:25]
	v_add_f64 v[26:27], v[26:27], v[34:35]
	v_cvt_i32_f64_e32 v34, v[14:15]
	v_add_f64 v[24:25], v[26:27], -v[24:25]
	v_fma_f64 v[26:27], v[14:15], s[28:29], v[24:25]
	v_add_f64 v[24:25], v[16:17], v[26:27]
	v_add_f64 v[16:17], v[24:25], -v[16:17]
	v_add_f64 v[26:27], v[26:27], -v[16:17]
.LBB1_16:                               ;   in Loop: Header=BB1_12 Depth=1
	s_or_b64 exec, exec, s[4:5]
                                        ; implicit-def: $vgpr32
                                        ; implicit-def: $vgpr14_vgpr15
                                        ; implicit-def: $vgpr16_vgpr17
	s_and_saveexec_b64 s[4:5], s[56:57]
	s_xor_b64 s[56:57], exec, s[4:5]
	s_cbranch_execz .LBB1_18
; %bb.17:                               ;   in Loop: Header=BB1_12 Depth=1
	v_cmp_ge_f64_e64 vcc, |v[10:11]|, s[14:15]
	s_mov_b32 s18, s10
	s_mov_b32 s23, s21
	v_cndmask_b32_e32 v15, v33, v23, vcc
	v_cndmask_b32_e32 v14, v10, v22, vcc
	v_mul_f64 v[16:17], v[20:21], v[14:15]
	v_mul_f64 v[22:23], v[18:19], v[14:15]
	v_mul_f64 v[50:51], v[12:13], v[14:15]
	v_fma_f64 v[20:21], v[20:21], v[14:15], -v[16:17]
	v_fma_f64 v[18:19], v[18:19], v[14:15], -v[22:23]
	;; [unrolled: 1-line block ×3, first 2 shown]
	v_add_f64 v[32:33], v[22:23], v[20:21]
	v_add_f64 v[35:36], v[32:33], -v[22:23]
	v_add_f64 v[52:53], v[16:17], v[32:33]
	v_add_f64 v[37:38], v[32:33], -v[35:36]
	v_add_f64 v[20:21], v[20:21], -v[35:36]
	v_add_f64 v[35:36], v[50:51], v[18:19]
	v_add_f64 v[16:17], v[52:53], -v[16:17]
	v_add_f64 v[22:23], v[22:23], -v[37:38]
	v_ldexp_f64 v[37:38], v[52:53], -2
	v_add_f64 v[54:55], v[35:36], -v[50:51]
	v_add_f64 v[16:17], v[32:33], -v[16:17]
	v_add_f64 v[20:21], v[20:21], v[22:23]
	v_fract_f64_e32 v[22:23], v[37:38]
	v_cmp_neq_f64_e64 vcc, |v[37:38]|, s[16:17]
	v_add_f64 v[18:19], v[18:19], -v[54:55]
	v_add_f64 v[32:33], v[35:36], v[20:21]
	v_ldexp_f64 v[22:23], v[22:23], 2
	v_add_f64 v[37:38], v[16:17], v[32:33]
	v_cndmask_b32_e32 v23, 0, v23, vcc
	v_cndmask_b32_e32 v22, 0, v22, vcc
	v_add_f64 v[56:57], v[32:33], -v[35:36]
	v_add_f64 v[52:53], v[37:38], v[22:23]
	v_add_f64 v[14:15], v[37:38], -v[16:17]
	v_add_f64 v[58:59], v[32:33], -v[56:57]
	v_add_f64 v[20:21], v[20:21], -v[56:57]
	v_cmp_gt_f64_e32 vcc, 0, v[52:53]
	v_add_f64 v[52:53], v[35:36], -v[54:55]
	v_add_f64 v[14:15], v[32:33], -v[14:15]
	;; [unrolled: 1-line block ×3, first 2 shown]
	v_cndmask_b32_e32 v1, 0, v48, vcc
	v_add_f64 v[22:23], v[22:23], v[0:1]
	v_add_f64 v[52:53], v[50:51], -v[52:53]
	v_add_f64 v[20:21], v[20:21], v[35:36]
	v_add_f64 v[60:61], v[37:38], v[22:23]
	;; [unrolled: 1-line block ×3, first 2 shown]
	v_cvt_i32_f64_e32 v1, v[60:61]
	v_add_f64 v[16:17], v[18:19], v[20:21]
	v_cvt_f64_i32_e32 v[54:55], v1
	v_add_f64 v[22:23], v[22:23], -v[54:55]
	v_add_f64 v[12:13], v[12:13], v[16:17]
	v_add_f64 v[18:19], v[37:38], v[22:23]
	;; [unrolled: 1-line block ×3, first 2 shown]
	v_add_f64 v[16:17], v[18:19], -v[22:23]
	v_cmp_le_f64_e32 vcc, 0.5, v[18:19]
	v_add_f64 v[14:15], v[37:38], -v[16:17]
	v_addc_co_u32_e64 v32, s[4:5], 0, v1, vcc
	v_cndmask_b32_e32 v1, 0, v49, vcc
	v_add_f64 v[12:13], v[12:13], v[14:15]
	v_add_f64 v[14:15], v[18:19], -v[0:1]
	v_add_f64 v[16:17], v[14:15], v[12:13]
	v_mul_f64 v[18:19], v[16:17], s[18:19]
	v_add_f64 v[14:15], v[16:17], -v[14:15]
	v_fma_f64 v[20:21], v[16:17], s[18:19], -v[18:19]
	v_add_f64 v[12:13], v[12:13], -v[14:15]
	v_fma_f64 v[14:15], v[16:17], s[22:23], v[20:21]
	v_fma_f64 v[12:13], v[12:13], s[18:19], v[14:15]
	v_add_f64 v[14:15], v[18:19], v[12:13]
	v_add_f64 v[16:17], v[14:15], -v[18:19]
	v_add_f64 v[16:17], v[12:13], -v[16:17]
	s_andn2_saveexec_b64 s[4:5], s[56:57]
	s_cbranch_execz .LBB1_11
	s_branch .LBB1_19
.LBB1_18:                               ;   in Loop: Header=BB1_12 Depth=1
	s_andn2_saveexec_b64 s[4:5], s[56:57]
	s_cbranch_execz .LBB1_11
.LBB1_19:                               ;   in Loop: Header=BB1_12 Depth=1
	v_mul_f64 v[12:13], |v[10:11]|, s[24:25]
	s_mov_b32 s20, s26
	v_rndne_f64_e32 v[12:13], v[12:13]
	v_fma_f64 v[14:15], v[12:13], s[10:11], |v[10:11]|
	v_mul_f64 v[16:17], v[12:13], s[26:27]
	v_cvt_i32_f64_e32 v32, v[12:13]
	v_fma_f64 v[22:23], v[12:13], s[26:27], v[14:15]
	v_add_f64 v[18:19], v[14:15], v[16:17]
	v_add_f64 v[20:21], v[14:15], -v[18:19]
	v_add_f64 v[18:19], v[18:19], -v[22:23]
	v_add_f64 v[14:15], v[20:21], v[16:17]
	v_fma_f64 v[16:17], v[12:13], s[20:21], v[16:17]
	v_add_f64 v[14:15], v[18:19], v[14:15]
	v_add_f64 v[14:15], v[14:15], -v[16:17]
	v_fma_f64 v[16:17], v[12:13], s[28:29], v[14:15]
	v_add_f64 v[14:15], v[22:23], v[16:17]
	v_add_f64 v[18:19], v[14:15], -v[22:23]
	v_add_f64 v[16:17], v[16:17], -v[18:19]
	s_branch .LBB1_11
.LBB1_20:
	buffer_load_dword v0, off, s[0:3], 0 offset:16
	buffer_load_dword v1, off, s[0:3], 0 offset:20
	;; [unrolled: 1-line block ×14, first 2 shown]
	v_mul_u32_u24_e32 v17, 0x240, v47
	v_lshl_or_b32 v17, v46, 3, v17
	v_add_u32_e32 v16, 0x800, v28
	s_mov_b32 s4, 0x667f3bcd
	s_mov_b32 s5, 0x3fe6a09e
	s_waitcnt vmcnt(6)
	ds_write2_b64 v28, v[2:3], v[8:9] offset1:72
	s_waitcnt vmcnt(3)
	ds_write2_b64 v28, v[4:5], v[10:11] offset0:144 offset1:216
	s_waitcnt vmcnt(1)
	ds_write2_b64 v16, v[0:1], v[14:15] offset0:32 offset1:104
	;; [unrolled: 2-line block ×3, first 2 shown]
	s_waitcnt lgkmcnt(0)
	s_barrier
	ds_read2_b64 v[0:3], v17 offset1:8
	ds_read2_b64 v[4:7], v17 offset0:16 offset1:24
	ds_read2_b64 v[8:11], v17 offset0:32 offset1:40
	;; [unrolled: 1-line block ×3, first 2 shown]
	s_waitcnt lgkmcnt(3)
	buffer_store_dword v1, off, s[0:3], 0 offset:4
	buffer_store_dword v0, off, s[0:3], 0
	buffer_store_dword v3, off, s[0:3], 0 offset:20
	buffer_store_dword v2, off, s[0:3], 0 offset:16
	s_waitcnt lgkmcnt(2)
	buffer_store_dword v5, off, s[0:3], 0 offset:36
	buffer_store_dword v4, off, s[0:3], 0 offset:32
	buffer_store_dword v7, off, s[0:3], 0 offset:52
	buffer_store_dword v6, off, s[0:3], 0 offset:48
	s_waitcnt lgkmcnt(1)
	buffer_store_dword v9, off, s[0:3], 0 offset:68
	buffer_store_dword v8, off, s[0:3], 0 offset:64
	;; [unrolled: 5-line block ×3, first 2 shown]
	buffer_store_dword v15, off, s[0:3], 0 offset:116
	buffer_store_dword v14, off, s[0:3], 0 offset:112
	s_waitcnt vmcnt(0)
	s_barrier
	buffer_load_dword v1, off, s[0:3], 0 offset:76
	buffer_load_dword v3, off, s[0:3], 0 offset:108
	buffer_load_dword v5, off, s[0:3], 0 offset:124
	buffer_load_dword v4, off, s[0:3], 0 offset:120
	buffer_load_dword v2, off, s[0:3], 0 offset:104
	buffer_load_dword v7, off, s[0:3], 0 offset:92
	buffer_load_dword v6, off, s[0:3], 0 offset:88
	buffer_load_dword v0, off, s[0:3], 0 offset:72
	buffer_load_dword v8, off, s[0:3], 0 offset:8
	buffer_load_dword v9, off, s[0:3], 0 offset:12
	buffer_load_dword v10, off, s[0:3], 0 offset:24
	buffer_load_dword v11, off, s[0:3], 0 offset:28
	buffer_load_dword v12, off, s[0:3], 0 offset:40
	buffer_load_dword v13, off, s[0:3], 0 offset:44
	buffer_load_dword v14, off, s[0:3], 0 offset:56
	buffer_load_dword v15, off, s[0:3], 0 offset:60
	s_waitcnt vmcnt(6)
	ds_write2_b64 v28, v[8:9], v[0:1] offset1:72
	s_waitcnt vmcnt(2)
	ds_write2_b64 v28, v[12:13], v[2:3] offset0:144 offset1:216
	ds_write2_b64 v16, v[10:11], v[6:7] offset0:32 offset1:104
	s_waitcnt vmcnt(0)
	ds_write2_b64 v16, v[14:15], v[4:5] offset0:176 offset1:248
	s_waitcnt lgkmcnt(0)
	s_barrier
	buffer_load_dword v0, off, s[0:3], 0
	buffer_load_dword v1, off, s[0:3], 0 offset:4
	buffer_load_dword v3, off, s[0:3], 0 offset:16
	;; [unrolled: 1-line block ×15, first 2 shown]
	ds_read2_b64 v[18:21], v17 offset1:8
	ds_read2_b64 v[22:25], v17 offset0:32 offset1:40
	ds_read2_b64 v[31:34], v17 offset0:16 offset1:24
	;; [unrolled: 1-line block ×3, first 2 shown]
	s_waitcnt lgkmcnt(2)
	v_add_f64 v[26:27], v[18:19], v[22:23]
	v_add_f64 v[46:47], v[20:21], v[24:25]
	s_waitcnt lgkmcnt(0)
	v_add_f64 v[48:49], v[31:32], v[35:36]
	v_add_f64 v[50:51], v[33:34], v[37:38]
	v_add_f64 v[17:18], v[18:19], -v[22:23]
	v_add_f64 v[19:20], v[20:21], -v[24:25]
	;; [unrolled: 1-line block ×4, first 2 shown]
	v_add_f64 v[52:53], v[26:27], v[48:49]
	v_add_f64 v[54:55], v[46:47], v[50:51]
	v_add_f64 v[33:34], v[46:47], -v[50:51]
	v_add_f64 v[26:27], v[26:27], -v[48:49]
	v_add_f64 v[56:57], v[52:53], v[54:55]
	v_add_f64 v[52:53], v[52:53], -v[54:55]
	v_ldexp_f64 v[54:55], v[56:57], -9
	v_ldexp_f64 v[22:23], v[52:53], -9
	buffer_store_dword v55, off, s[0:3], 0 offset:12
	buffer_store_dword v54, off, s[0:3], 0 offset:8
	;; [unrolled: 1-line block ×4, first 2 shown]
	buffer_load_dword v2, off, s[0:3], 0 offset:8
	s_waitcnt vmcnt(10)
	v_add_f64 v[21:22], v[3:4], -v[13:14]
	s_waitcnt vmcnt(9)
	v_add_f64 v[35:36], v[0:1], v[7:8]
	s_waitcnt vmcnt(8)
	v_add_f64 v[37:38], v[5:6], -v[9:10]
	v_add_f64 v[3:4], v[3:4], v[13:14]
	v_add_f64 v[5:6], v[5:6], v[9:10]
	s_waitcnt vmcnt(5)
	v_add_f64 v[9:10], v[15:16], v[11:12]
	v_add_f64 v[0:1], v[0:1], -v[7:8]
	v_add_f64 v[7:8], v[15:16], -v[11:12]
	;; [unrolled: 1-line block ×3, first 2 shown]
	v_add_f64 v[13:14], v[21:22], v[19:20]
	v_add_f64 v[15:16], -v[37:38], -v[31:32]
	v_add_f64 v[19:20], v[37:38], -v[31:32]
	v_add_f64 v[21:22], v[3:4], -v[5:6]
	v_add_f64 v[31:32], v[35:36], v[9:10]
	v_add_f64 v[3:4], v[3:4], v[5:6]
	v_fma_f64 v[5:6], v[7:8], 0, -v[24:25]
	v_fma_f64 v[7:8], v[24:25], 0, v[7:8]
	v_add_f64 v[9:10], v[35:36], -v[9:10]
	v_mul_f64 v[15:16], v[15:16], s[4:5]
	v_mul_f64 v[19:20], v[19:20], s[4:5]
	v_fma_f64 v[23:24], v[21:22], 0, -v[33:34]
	v_fma_f64 v[21:22], v[33:34], 0, v[21:22]
	v_add_f64 v[33:34], v[31:32], v[3:4]
	v_add_f64 v[3:4], v[31:32], -v[3:4]
	v_add_f64 v[31:32], v[0:1], v[5:6]
	v_add_f64 v[35:36], v[17:18], v[7:8]
	v_add_f64 v[0:1], v[0:1], -v[5:6]
	v_add_f64 v[5:6], v[17:18], -v[7:8]
	v_fma_f64 v[17:18], v[11:12], s[4:5], -v[15:16]
	v_fma_f64 v[37:38], v[13:14], s[4:5], -v[19:20]
	v_add_f64 v[7:8], v[9:10], v[23:24]
	v_fma_f64 v[11:12], v[11:12], s[4:5], v[15:16]
	v_fma_f64 v[13:14], v[13:14], s[4:5], v[19:20]
	v_ldexp_f64 v[19:20], v[33:34], -9
	v_add_f64 v[46:47], v[26:27], v[21:22]
	v_ldexp_f64 v[3:4], v[3:4], -9
	v_add_f64 v[9:10], v[9:10], -v[23:24]
	v_add_f64 v[15:16], v[26:27], -v[21:22]
	v_fma_f64 v[21:22], v[17:18], 0, -v[37:38]
	v_add_f64 v[23:24], v[31:32], v[11:12]
	buffer_store_dword v19, off, s[0:3], 0
	buffer_store_dword v20, off, s[0:3], 0 offset:4
	buffer_store_dword v4, off, s[0:3], 0 offset:20
	;; [unrolled: 1-line block ×3, first 2 shown]
	v_ldexp_f64 v[3:4], v[7:8], -9
	v_fma_f64 v[17:18], v[37:38], 0, v[17:18]
	v_add_f64 v[25:26], v[35:36], v[13:14]
	v_ldexp_f64 v[7:8], v[46:47], -9
	v_add_f64 v[11:12], v[31:32], -v[11:12]
	v_ldexp_f64 v[9:10], v[9:10], -9
	v_add_f64 v[13:14], v[35:36], -v[13:14]
	v_ldexp_f64 v[15:16], v[15:16], -9
	v_add_f64 v[19:20], v[0:1], v[21:22]
	buffer_store_dword v4, off, s[0:3], 0 offset:36
	buffer_store_dword v3, off, s[0:3], 0 offset:32
	;; [unrolled: 1-line block ×4, first 2 shown]
	v_ldexp_f64 v[3:4], v[23:24], -9
	v_add_f64 v[27:28], v[5:6], v[17:18]
	v_ldexp_f64 v[7:8], v[25:26], -9
	v_add_f64 v[0:1], v[0:1], -v[21:22]
	buffer_store_dword v9, off, s[0:3], 0 offset:48
	buffer_store_dword v10, off, s[0:3], 0 offset:52
	v_ldexp_f64 v[9:10], v[11:12], -9
	v_add_f64 v[5:6], v[5:6], -v[17:18]
	v_ldexp_f64 v[11:12], v[13:14], -9
	buffer_store_dword v15, off, s[0:3], 0 offset:56
	buffer_store_dword v16, off, s[0:3], 0 offset:60
	;; [unrolled: 1-line block ×10, first 2 shown]
	v_ldexp_f64 v[9:10], v[19:20], -9
	v_ldexp_f64 v[11:12], v[27:28], -9
	;; [unrolled: 1-line block ×3, first 2 shown]
	s_movk_i32 s4, 0x1400
	v_ldexp_f64 v[23:24], v[5:6], -9
	buffer_load_dword v0, off, s[0:3], 0
	buffer_load_dword v1, off, s[0:3], 0 offset:4
	buffer_load_dword v3, off, s[0:3], 0 offset:12
	buffer_load_dword v7, v42, s[0:3], 0 offen offset:12
	buffer_load_dword v8, v41, s[0:3], 0 offen
	buffer_load_dword v6, v42, s[0:3], 0 offen offset:8
	buffer_load_dword v5, v42, s[0:3], 0 offen offset:4
	buffer_load_dword v4, v42, s[0:3], 0 offen
	buffer_load_dword v13, v39, s[0:3], 0 offen offset:4
	buffer_load_dword v14, v39, s[0:3], 0 offen offset:8
	;; [unrolled: 1-line block ×3, first 2 shown]
	buffer_load_dword v16, v45, s[0:3], 0 offen
	buffer_load_dword v17, v45, s[0:3], 0 offen offset:4
	buffer_load_dword v18, v45, s[0:3], 0 offen offset:8
                                        ; kill: killed $vgpr42
	buffer_load_dword v19, v45, s[0:3], 0 offen offset:12
	buffer_load_dword v20, v40, s[0:3], 0 offen
	s_nop 0
	buffer_store_dword v10, off, s[0:3], 0 offset:100
	buffer_store_dword v9, off, s[0:3], 0 offset:96
	;; [unrolled: 1-line block ×8, first 2 shown]
	buffer_load_dword v11, v41, s[0:3], 0 offen offset:12
	s_nop 0
	buffer_load_dword v24, v44, s[0:3], 0 offen
	buffer_load_dword v25, v44, s[0:3], 0 offen offset:4
	buffer_load_dword v26, v44, s[0:3], 0 offen offset:8
	;; [unrolled: 1-line block ×3, first 2 shown]
	buffer_load_dword v12, v39, s[0:3], 0 offen
	buffer_load_dword v10, v41, s[0:3], 0 offen offset:8
	buffer_load_dword v9, v41, s[0:3], 0 offen offset:4
                                        ; kill: killed $vgpr41
                                        ; kill: killed $vgpr44
                                        ; kill: killed $vgpr39
	buffer_load_dword v21, v40, s[0:3], 0 offen offset:4
	buffer_load_dword v22, v40, s[0:3], 0 offen offset:8
	;; [unrolled: 1-line block ×3, first 2 shown]
                                        ; kill: killed $vgpr40
	buffer_load_dword v31, v43, s[0:3], 0 offen
	buffer_load_dword v32, v43, s[0:3], 0 offen offset:4
	buffer_load_dword v33, v43, s[0:3], 0 offen offset:8
	;; [unrolled: 1-line block ×3, first 2 shown]
	v_add_co_u32_e32 v35, vcc, s4, v29
	v_addc_co_u32_e32 v36, vcc, 0, v30, vcc
	s_waitcnt vmcnt(36)
	global_store_dwordx4 v[29:30], v[0:3], off
	s_waitcnt vmcnt(32)
	global_store_dwordx4 v[35:36], v[4:7], off offset:-4096
	s_waitcnt vmcnt(26)
	global_store_dwordx4 v[35:36], v[16:19], off
	s_waitcnt vmcnt(7)
	global_store_dwordx4 v[35:36], v[20:23], off offset:1024
	global_store_dwordx4 v[35:36], v[8:11], off offset:-3072
	global_store_dwordx4 v[35:36], v[24:27], off offset:-2048
	;; [unrolled: 1-line block ×3, first 2 shown]
	s_waitcnt vmcnt(7)
	global_store_dwordx4 v[35:36], v[31:34], off offset:2048
	s_endpgm
	.section	.rodata,"a",@progbits
	.p2align	6, 0x0
	.amdhsa_kernel _Z10ifft1D_512P15HIP_vector_typeIdLj2EE
		.amdhsa_group_segment_fixed_size 4608
		.amdhsa_private_segment_fixed_size 144
		.amdhsa_kernarg_size 8
		.amdhsa_user_sgpr_count 6
		.amdhsa_user_sgpr_private_segment_buffer 1
		.amdhsa_user_sgpr_dispatch_ptr 0
		.amdhsa_user_sgpr_queue_ptr 0
		.amdhsa_user_sgpr_kernarg_segment_ptr 1
		.amdhsa_user_sgpr_dispatch_id 0
		.amdhsa_user_sgpr_flat_scratch_init 0
		.amdhsa_user_sgpr_private_segment_size 0
		.amdhsa_uses_dynamic_stack 0
		.amdhsa_system_sgpr_private_segment_wavefront_offset 1
		.amdhsa_system_sgpr_workgroup_id_x 1
		.amdhsa_system_sgpr_workgroup_id_y 0
		.amdhsa_system_sgpr_workgroup_id_z 0
		.amdhsa_system_sgpr_workgroup_info 0
		.amdhsa_system_vgpr_workitem_id 0
		.amdhsa_next_free_vgpr 62
		.amdhsa_next_free_sgpr 63
		.amdhsa_reserve_vcc 1
		.amdhsa_reserve_flat_scratch 0
		.amdhsa_float_round_mode_32 0
		.amdhsa_float_round_mode_16_64 0
		.amdhsa_float_denorm_mode_32 3
		.amdhsa_float_denorm_mode_16_64 3
		.amdhsa_dx10_clamp 1
		.amdhsa_ieee_mode 1
		.amdhsa_fp16_overflow 0
		.amdhsa_exception_fp_ieee_invalid_op 0
		.amdhsa_exception_fp_denorm_src 0
		.amdhsa_exception_fp_ieee_div_zero 0
		.amdhsa_exception_fp_ieee_overflow 0
		.amdhsa_exception_fp_ieee_underflow 0
		.amdhsa_exception_fp_ieee_inexact 0
		.amdhsa_exception_int_div_zero 0
	.end_amdhsa_kernel
	.text
.Lfunc_end1:
	.size	_Z10ifft1D_512P15HIP_vector_typeIdLj2EE, .Lfunc_end1-_Z10ifft1D_512P15HIP_vector_typeIdLj2EE
                                        ; -- End function
	.set _Z10ifft1D_512P15HIP_vector_typeIdLj2EE.num_vgpr, 62
	.set _Z10ifft1D_512P15HIP_vector_typeIdLj2EE.num_agpr, 0
	.set _Z10ifft1D_512P15HIP_vector_typeIdLj2EE.numbered_sgpr, 63
	.set _Z10ifft1D_512P15HIP_vector_typeIdLj2EE.num_named_barrier, 0
	.set _Z10ifft1D_512P15HIP_vector_typeIdLj2EE.private_seg_size, 144
	.set _Z10ifft1D_512P15HIP_vector_typeIdLj2EE.uses_vcc, 1
	.set _Z10ifft1D_512P15HIP_vector_typeIdLj2EE.uses_flat_scratch, 0
	.set _Z10ifft1D_512P15HIP_vector_typeIdLj2EE.has_dyn_sized_stack, 0
	.set _Z10ifft1D_512P15HIP_vector_typeIdLj2EE.has_recursion, 0
	.set _Z10ifft1D_512P15HIP_vector_typeIdLj2EE.has_indirect_call, 0
	.section	.AMDGPU.csdata,"",@progbits
; Kernel info:
; codeLenInByte = 10016
; TotalNumSgprs: 67
; NumVgprs: 62
; ScratchSize: 144
; MemoryBound: 0
; FloatMode: 240
; IeeeMode: 1
; LDSByteSize: 4608 bytes/workgroup (compile time only)
; SGPRBlocks: 8
; VGPRBlocks: 15
; NumSGPRsForWavesPerEU: 67
; NumVGPRsForWavesPerEU: 62
; Occupancy: 4
; WaveLimiterHint : 1
; COMPUTE_PGM_RSRC2:SCRATCH_EN: 1
; COMPUTE_PGM_RSRC2:USER_SGPR: 6
; COMPUTE_PGM_RSRC2:TRAP_HANDLER: 0
; COMPUTE_PGM_RSRC2:TGID_X_EN: 1
; COMPUTE_PGM_RSRC2:TGID_Y_EN: 0
; COMPUTE_PGM_RSRC2:TGID_Z_EN: 0
; COMPUTE_PGM_RSRC2:TIDIG_COMP_CNT: 0
	.section	.AMDGPU.gpr_maximums,"",@progbits
	.set amdgpu.max_num_vgpr, 0
	.set amdgpu.max_num_agpr, 0
	.set amdgpu.max_num_sgpr, 0
	.section	.AMDGPU.csdata,"",@progbits
	.type	__const._Z9fft1D_512P15HIP_vector_typeIdLj2EE.reversed,@object ; @__const._Z9fft1D_512P15HIP_vector_typeIdLj2EE.reversed
	.section	.rodata.cst32,"aM",@progbits,32
	.p2align	4, 0x0
__const._Z9fft1D_512P15HIP_vector_typeIdLj2EE.reversed:
	.long	0                               ; 0x0
	.long	4                               ; 0x4
	;; [unrolled: 1-line block ×8, first 2 shown]
	.size	__const._Z9fft1D_512P15HIP_vector_typeIdLj2EE.reversed, 32

	.type	__const._Z10ifft1D_512P15HIP_vector_typeIdLj2EE.reversed,@object ; @__const._Z10ifft1D_512P15HIP_vector_typeIdLj2EE.reversed
	.p2align	4, 0x0
__const._Z10ifft1D_512P15HIP_vector_typeIdLj2EE.reversed:
	.long	0                               ; 0x0
	.long	4                               ; 0x4
	;; [unrolled: 1-line block ×8, first 2 shown]
	.size	__const._Z10ifft1D_512P15HIP_vector_typeIdLj2EE.reversed, 32

	.type	__hip_cuid_3412b8e958a7ef18,@object ; @__hip_cuid_3412b8e958a7ef18
	.section	.bss,"aw",@nobits
	.globl	__hip_cuid_3412b8e958a7ef18
__hip_cuid_3412b8e958a7ef18:
	.byte	0                               ; 0x0
	.size	__hip_cuid_3412b8e958a7ef18, 1

	.ident	"AMD clang version 22.0.0git (https://github.com/RadeonOpenCompute/llvm-project roc-7.2.4 26084 f58b06dce1f9c15707c5f808fd002e18c2accf7e)"
	.section	".note.GNU-stack","",@progbits
	.addrsig
	.addrsig_sym __hip_cuid_3412b8e958a7ef18
	.amdgpu_metadata
---
amdhsa.kernels:
  - .args:
      - .address_space:  global
        .offset:         0
        .size:           8
        .value_kind:     global_buffer
    .group_segment_fixed_size: 4608
    .kernarg_segment_align: 8
    .kernarg_segment_size: 8
    .language:       OpenCL C
    .language_version:
      - 2
      - 0
    .max_flat_workgroup_size: 1024
    .name:           _Z9fft1D_512P15HIP_vector_typeIdLj2EE
    .private_segment_fixed_size: 144
    .sgpr_count:     67
    .sgpr_spill_count: 0
    .symbol:         _Z9fft1D_512P15HIP_vector_typeIdLj2EE.kd
    .uniform_work_group_size: 1
    .uses_dynamic_stack: false
    .vgpr_count:     62
    .vgpr_spill_count: 0
    .wavefront_size: 64
  - .args:
      - .address_space:  global
        .offset:         0
        .size:           8
        .value_kind:     global_buffer
    .group_segment_fixed_size: 4608
    .kernarg_segment_align: 8
    .kernarg_segment_size: 8
    .language:       OpenCL C
    .language_version:
      - 2
      - 0
    .max_flat_workgroup_size: 1024
    .name:           _Z10ifft1D_512P15HIP_vector_typeIdLj2EE
    .private_segment_fixed_size: 144
    .sgpr_count:     67
    .sgpr_spill_count: 0
    .symbol:         _Z10ifft1D_512P15HIP_vector_typeIdLj2EE.kd
    .uniform_work_group_size: 1
    .uses_dynamic_stack: false
    .vgpr_count:     62
    .vgpr_spill_count: 0
    .wavefront_size: 64
amdhsa.target:   amdgcn-amd-amdhsa--gfx906
amdhsa.version:
  - 1
  - 2
...

	.end_amdgpu_metadata
